;; amdgpu-corpus repo=ggml-org/llama.cpp kind=compiled arch=gfx1250 opt=O3
	.amdgcn_target "amdgcn-amd-amdhsa--gfx1250"
	.amdhsa_code_object_version 6
	.section	.text._ZL12ssm_conv_f32ILb1ELm128ELm3EEvPKfS1_S1_iiiiPfiiil,"axG",@progbits,_ZL12ssm_conv_f32ILb1ELm128ELm3EEvPKfS1_S1_iiiiPfiiil,comdat
	.globl	_ZL12ssm_conv_f32ILb1ELm128ELm3EEvPKfS1_S1_iiiiPfiiil ; -- Begin function _ZL12ssm_conv_f32ILb1ELm128ELm3EEvPKfS1_S1_iiiiPfiiil
	.p2align	8
	.type	_ZL12ssm_conv_f32ILb1ELm128ELm3EEvPKfS1_S1_iiiiPfiiil,@function
_ZL12ssm_conv_f32ILb1ELm128ELm3EEvPKfS1_S1_iiiiPfiiil: ; @_ZL12ssm_conv_f32ILb1ELm128ELm3EEvPKfS1_S1_iiiiPfiiil
; %bb.0:
	s_load_b64 s[4:5], s[0:1], 0x10
	s_bfe_u32 s2, ttmp6, 0x40010
	s_bfe_u32 s3, ttmp6, 0x40004
	s_add_co_i32 s2, s2, 1
	s_getreg_b32 s7, hwreg(HW_REG_IB_STS2, 6, 4)
	s_mul_i32 s2, ttmp7, s2
	s_delay_alu instid0(SALU_CYCLE_1) | instskip(SKIP_2) | instid1(SALU_CYCLE_1)
	s_add_co_i32 s3, s3, s2
	s_cmp_eq_u32 s7, 0
	s_cselect_b32 s2, ttmp7, s3
	s_ashr_i32 s3, s2, 31
	s_delay_alu instid0(SALU_CYCLE_1)
	s_lshl_b64 s[2:3], s[2:3], 7
	s_wait_kmcnt 0x0
	s_cmp_eq_u64 s[4:5], 0
	s_cbranch_scc1 .LBB0_2
; %bb.1:
	s_lshl_b64 s[8:9], s[2:3], 2
	s_delay_alu instid0(SALU_CYCLE_1)
	s_add_nc_u64 s[4:5], s[4:5], s[8:9]
	global_load_b32 v9, v0, s[4:5] scale_offset
	s_load_b64 s[12:13], s[0:1], 0x40
	s_wait_kmcnt 0x0
	v_cmp_lt_i64_e64 s4, s[12:13], 1
	s_and_b32 vcc_lo, exec_lo, s4
	s_cbranch_vccz .LBB0_3
	s_branch .LBB0_6
.LBB0_2:
	v_mov_b32_e32 v9, 0
	s_load_b64 s[12:13], s[0:1], 0x40
	s_wait_kmcnt 0x0
	v_cmp_lt_i64_e64 s4, s[12:13], 1
	s_and_b32 vcc_lo, exec_lo, s4
	s_cbranch_vccnz .LBB0_6
.LBB0_3:
	s_clause 0x1
	s_load_b96 s[4:6], s[0:1], 0x1c
	s_load_b128 s[8:11], s[0:1], 0x0
	s_bfe_u32 s14, ttmp6, 0x4000c
	s_and_b32 s15, ttmp6, 15
	s_add_co_i32 s14, s14, 1
	s_delay_alu instid0(SALU_CYCLE_1) | instskip(NEXT) | instid1(SALU_CYCLE_1)
	s_mul_i32 s14, ttmp9, s14
	s_add_co_i32 s14, s15, s14
	s_wait_kmcnt 0x0
	s_ashr_i32 s15, s6, 31
	s_ashr_i32 s16, s6, 2
	s_cmp_eq_u32 s7, 0
	v_mul_lo_u32 v2, s16, v0
	s_cselect_b32 s16, ttmp9, s14
	s_ashr_i32 s7, s4, 2
	s_mov_b32 s14, s6
	v_mul_lo_u32 v4, s7, v0
	s_mul_u64 s[6:7], s[2:3], s[14:15]
	s_mul_i32 s14, s5, s16
	s_ashr_i32 s5, s4, 31
	s_ashr_i32 s15, s14, 31
	s_mul_u64 s[4:5], s[2:3], s[4:5]
	s_add_nc_u64 s[8:9], s[8:9], s[14:15]
	v_ashrrev_i32_e32 v3, 31, v2
	s_add_nc_u64 s[6:7], s[10:11], s[6:7]
	s_add_nc_u64 s[4:5], s[8:9], s[4:5]
	s_delay_alu instid0(VALU_DEP_2) | instskip(NEXT) | instid1(VALU_DEP_2)
	v_ashrrev_i32_e32 v5, 31, v4
	v_lshl_add_u64 v[10:11], v[2:3], 2, s[6:7]
	s_delay_alu instid0(VALU_DEP_2)
	v_lshl_add_u64 v[12:13], v[4:5], 2, s[4:5]
	s_load_b96 s[4:6], s[0:1], 0x30
	global_load_b96 v[2:4], v[10:11], off
	global_load_b96 v[6:8], v[12:13], off
	s_load_b64 s[0:1], s[0:1], 0x28
	s_wait_kmcnt 0x0
	s_mul_i32 s6, s6, s16
	s_ashr_i32 s9, s4, 31
	s_ashr_i32 s7, s6, 31
	s_mov_b32 s8, s4
	s_add_nc_u64 s[0:1], s[0:1], s[6:7]
	s_mul_u64 s[6:7], s[2:3], s[8:9]
	s_cmp_eq_u64 s[12:13], 1
	s_add_nc_u64 s[8:9], s[0:1], s[6:7]
	s_mov_b32 s3, 0
	s_wait_loadcnt 0x1
	v_dual_mov_b32 v10, v3 :: v_dual_mov_b32 v11, v4
	s_wait_loadcnt 0x0
	v_dual_mov_b32 v4, v7 :: v_dual_mov_b32 v5, v8
	v_fma_f32 v1, v2, v6, 0
	s_delay_alu instid0(VALU_DEP_2) | instskip(NEXT) | instid1(VALU_DEP_1)
	v_pk_mul_f32 v[4:5], v[10:11], v[4:5]
	v_add_f32_e32 v1, v1, v4
	s_delay_alu instid0(VALU_DEP_1) | instskip(NEXT) | instid1(VALU_DEP_1)
	v_add_f32_e32 v1, v1, v5
	v_add_f32_e32 v1, v9, v1
	s_delay_alu instid0(VALU_DEP_1) | instskip(SKIP_1) | instid1(VALU_DEP_2)
	v_mul_f32_e32 v3, 0xbfb8aa3b, v1
	v_cmp_nlt_f32_e32 vcc_lo, 0x42ce8ed0, v1
	v_fma_f32 v4, 0xbfb8aa3b, v1, -v3
	v_rndne_f32_e32 v5, v3
	s_delay_alu instid0(VALU_DEP_2) | instskip(NEXT) | instid1(VALU_DEP_2)
	v_fmac_f32_e32 v4, 0xb2a5705f, v1
	v_sub_f32_e32 v3, v3, v5
	s_delay_alu instid0(VALU_DEP_1) | instskip(SKIP_1) | instid1(VALU_DEP_2)
	v_add_f32_e32 v3, v3, v4
	v_cvt_i32_f32_e32 v4, v5
	v_exp_f32_e32 v3, v3
	v_nop
	s_delay_alu instid0(TRANS32_DEP_1) | instskip(NEXT) | instid1(VALU_DEP_1)
	v_ldexp_f32 v3, v3, v4
	v_cndmask_b32_e32 v3, 0, v3, vcc_lo
	v_cmp_ngt_f32_e32 vcc_lo, 0xc2b17218, v1
	s_delay_alu instid0(VALU_DEP_2) | instskip(NEXT) | instid1(VALU_DEP_1)
	v_cndmask_b32_e32 v3, 0x7f800000, v3, vcc_lo
	v_add_f32_e32 v3, 1.0, v3
	s_delay_alu instid0(VALU_DEP_1) | instskip(NEXT) | instid1(VALU_DEP_1)
	v_div_scale_f32 v4, null, v3, v3, v1
	v_rcp_f32_e32 v5, v4
	v_nop
	s_delay_alu instid0(TRANS32_DEP_1) | instskip(NEXT) | instid1(VALU_DEP_1)
	v_fma_f32 v14, -v4, v5, 1.0
	v_fmac_f32_e32 v5, v14, v5
	v_div_scale_f32 v14, vcc_lo, v1, v3, v1
	s_delay_alu instid0(VALU_DEP_1) | instskip(NEXT) | instid1(VALU_DEP_1)
	v_mul_f32_e32 v15, v14, v5
	v_fma_f32 v16, -v4, v15, v14
	s_delay_alu instid0(VALU_DEP_1) | instskip(NEXT) | instid1(VALU_DEP_1)
	v_fmac_f32_e32 v15, v16, v5
	v_fma_f32 v4, -v4, v15, v14
	s_delay_alu instid0(VALU_DEP_1) | instskip(SKIP_1) | instid1(VALU_DEP_2)
	v_div_fmas_f32 v4, v4, v5, v15
	v_mov_b32_e32 v5, 0
	v_div_fixup_f32 v1, v4, v3, v1
	global_store_b32 v0, v1, s[8:9] scale_offset
	s_cbranch_scc1 .LBB0_6
; %bb.4:
	s_ashr_i32 s4, s5, 2
	v_lshlrev_b32_e32 v4, 2, v0
	s_ashr_i32 s5, s4, 31
	s_wait_xcnt 0x0
	v_add_nc_u64_e32 v[0:1], 12, v[12:13]
	s_lshl_b64 s[4:5], s[4:5], 2
	s_mov_b64 s[8:9], 0xffffffff
	s_add_nc_u64 s[6:7], s[6:7], s[4:5]
	s_mov_b64 s[10:11], 0xaaaaaaaa
	s_add_nc_u64 s[0:1], s[0:1], s[6:7]
	s_mov_b64 s[6:7], 0xaaaaaaab
	v_add_nc_u64_e32 v[4:5], s[0:1], v[4:5]
	s_add_nc_u64 s[12:13], s[12:13], -1
	s_mov_b64 s[14:15], 1
	s_mov_b64 s[16:17], 3
	;; [unrolled: 1-line block ×4, first 2 shown]
.LBB0_5:                                ; =>This Inner Loop Header: Depth=1
	global_load_b32 v3, v[0:1], off
	s_mov_b32 s2, s15
	s_and_b64 s[0:1], s[14:15], s[8:9]
	s_mov_b32 s28, s16
	s_mov_b32 s29, s3
	;; [unrolled: 1-line block ×4, first 2 shown]
	s_mul_u64 s[54:55], s[2:3], s[6:7]
	s_mul_u64 s[56:57], s[0:1], s[6:7]
	;; [unrolled: 1-line block ×3, first 2 shown]
	s_mov_b32 s2, s17
	s_mul_u64 s[60:61], s[28:29], s[6:7]
	s_mov_b32 s23, s3
	s_mov_b32 s31, s3
	;; [unrolled: 1-line block ×4, first 2 shown]
	s_mul_u64 s[62:63], s[38:39], s[6:7]
	s_mov_b32 s22, s57
	s_mul_u64 s[56:57], s[2:3], s[6:7]
	s_mov_b32 s30, s61
	;; [unrolled: 2-line block ×3, first 2 shown]
	s_mov_b32 s41, s3
	s_mul_u64 s[64:65], s[46:47], s[6:7]
	s_mov_b32 s40, s63
	s_add_nc_u64 s[22:23], s[54:55], s[22:23]
	s_add_nc_u64 s[30:31], s[56:57], s[30:31]
	s_mul_u64 s[54:55], s[2:3], s[6:7]
	s_mul_u64 s[56:57], s[2:3], s[10:11]
	s_mov_b32 s2, s21
	s_mov_b32 s49, s3
	s_mul_u64 s[0:1], s[0:1], s[10:11]
	s_mul_u64 s[28:29], s[28:29], s[10:11]
	s_mov_b32 s48, s65
	s_mov_b32 s24, s23
	;; [unrolled: 1-line block ×5, first 2 shown]
	s_add_nc_u64 s[40:41], s[54:55], s[40:41]
	s_mul_u64 s[54:55], s[2:3], s[6:7]
	s_mul_u64 s[38:39], s[38:39], s[10:11]
	s_add_nc_u64 s[0:1], s[0:1], s[22:23]
	s_add_nc_u64 s[22:23], s[28:29], s[30:31]
	s_mov_b32 s42, s41
	s_mov_b32 s41, s3
	s_add_nc_u64 s[28:29], s[54:55], s[48:49]
	s_mov_b32 s25, s3
	s_mov_b32 s27, s3
	;; [unrolled: 1-line block ×4, first 2 shown]
	s_mul_u64 s[46:47], s[46:47], s[10:11]
	s_mov_b32 s26, s1
	s_mov_b32 s36, s23
	s_add_nc_u64 s[0:1], s[38:39], s[40:41]
	s_mov_b32 s50, s29
	s_mov_b32 s29, s3
	;; [unrolled: 1-line block ×4, first 2 shown]
	s_add_nc_u64 s[22:23], s[24:25], s[26:27]
	s_add_nc_u64 s[24:25], s[34:35], s[36:37]
	s_mov_b32 s44, s1
	s_add_nc_u64 s[0:1], s[46:47], s[28:29]
	s_mov_b32 s51, s3
	s_mov_b32 s53, s3
	s_add_nc_u64 s[22:23], s[58:59], s[22:23]
	s_add_nc_u64 s[24:25], s[60:61], s[24:25]
	;; [unrolled: 1-line block ×3, first 2 shown]
	s_mov_b32 s52, s1
	s_mul_u64 s[62:63], s[2:3], s[10:11]
	s_lshr_b64 s[0:1], s[22:23], 1
	s_lshr_b64 s[22:23], s[24:25], 1
	s_add_nc_u64 s[24:25], s[56:57], s[26:27]
	s_add_nc_u64 s[26:27], s[50:51], s[52:53]
	s_mul_i32 s28, s22, 3
	s_add_nc_u64 s[22:23], s[62:63], s[26:27]
	s_mul_i32 s2, s0, 3
	s_lshr_b64 s[22:23], s[22:23], 1
	s_lshr_b64 s[0:1], s[24:25], 1
	s_mul_i32 s1, s22, 3
	s_mul_i32 s0, s0, 3
	s_sub_co_i32 s1, s20, s1
	s_sub_co_i32 s2, s14, s2
	;; [unrolled: 1-line block ×4, first 2 shown]
	s_cmp_eq_u32 s1, 2
	s_wait_xcnt 0x0
	v_add_nc_u64_e32 v[0:1], 4, v[0:1]
	s_cselect_b32 vcc_lo, -1, 0
	s_cmp_eq_u32 s1, 1
	s_add_nc_u64 s[12:13], s[12:13], -1
	s_cselect_b32 s0, -1, 0
	s_cmp_eq_u32 s1, 0
	s_add_nc_u64 s[14:15], s[14:15], 1
	s_cselect_b32 s1, -1, 0
	s_cmp_eq_u32 s2, 1
	s_add_nc_u64 s[16:17], s[16:17], 1
	s_add_nc_u64 s[18:19], s[18:19], 1
	;; [unrolled: 1-line block ×3, first 2 shown]
	s_wait_loadcnt 0x0
	v_dual_cndmask_b32 v7, v7, v3, s0 :: v_dual_cndmask_b32 v6, v6, v3, s1
	v_cndmask_b32_e32 v8, v8, v3, vcc_lo
	s_cselect_b32 vcc_lo, -1, 0
	s_cmp_eq_u32 s2, 2
	s_delay_alu instid0(VALU_DEP_2)
	v_cndmask_b32_e32 v3, v6, v7, vcc_lo
	s_cselect_b32 vcc_lo, -1, 0
	s_cmp_eq_u32 s22, 1
	s_cselect_b32 s0, -1, 0
	s_cmp_eq_u32 s22, 2
	v_cndmask_b32_e64 v12, v6, v7, s0
	s_cselect_b32 s0, -1, 0
	s_cmp_eq_u32 s24, 1
	v_cndmask_b32_e32 v3, v3, v8, vcc_lo
	s_cselect_b32 vcc_lo, -1, 0
	s_cmp_eq_u32 s24, 2
	v_cndmask_b32_e32 v13, v6, v7, vcc_lo
	s_cselect_b32 vcc_lo, -1, 0
	v_cndmask_b32_e64 v12, v12, v8, s0
	v_fma_f32 v3, v2, v3, 0
	s_cmp_eq_u64 s[12:13], 0
	v_cndmask_b32_e32 v13, v13, v8, vcc_lo
	s_delay_alu instid0(VALU_DEP_1) | instskip(NEXT) | instid1(VALU_DEP_1)
	v_pk_mul_f32 v[12:13], v[10:11], v[12:13]
	v_add_f32_e32 v3, v3, v12
	s_delay_alu instid0(VALU_DEP_1) | instskip(NEXT) | instid1(VALU_DEP_1)
	v_add_f32_e32 v3, v3, v13
	v_add_f32_e32 v3, v9, v3
	s_delay_alu instid0(VALU_DEP_1) | instskip(NEXT) | instid1(VALU_DEP_1)
	v_mul_f32_e32 v12, 0xbfb8aa3b, v3
	v_fma_f32 v13, 0xbfb8aa3b, v3, -v12
	v_rndne_f32_e32 v14, v12
	s_delay_alu instid0(VALU_DEP_1) | instskip(NEXT) | instid1(VALU_DEP_1)
	v_dual_fmac_f32 v13, 0xb2a5705f, v3 :: v_dual_sub_f32 v12, v12, v14
	v_add_f32_e32 v12, v12, v13
	v_cvt_i32_f32_e32 v13, v14
	v_cmp_nlt_f32_e32 vcc_lo, 0x42ce8ed0, v3
	s_delay_alu instid0(VALU_DEP_3) | instskip(SKIP_1) | instid1(TRANS32_DEP_1)
	v_exp_f32_e32 v12, v12
	v_nop
	v_ldexp_f32 v12, v12, v13
	s_delay_alu instid0(VALU_DEP_1) | instskip(SKIP_1) | instid1(VALU_DEP_2)
	v_cndmask_b32_e32 v12, 0, v12, vcc_lo
	v_cmp_ngt_f32_e32 vcc_lo, 0xc2b17218, v3
	v_cndmask_b32_e32 v12, 0x7f800000, v12, vcc_lo
	s_delay_alu instid0(VALU_DEP_1) | instskip(NEXT) | instid1(VALU_DEP_1)
	v_add_f32_e32 v12, 1.0, v12
	v_div_scale_f32 v13, null, v12, v12, v3
	s_delay_alu instid0(VALU_DEP_1) | instskip(SKIP_1) | instid1(TRANS32_DEP_1)
	v_rcp_f32_e32 v14, v13
	v_nop
	v_fma_f32 v15, -v13, v14, 1.0
	s_delay_alu instid0(VALU_DEP_1) | instskip(SKIP_1) | instid1(VALU_DEP_1)
	v_fmac_f32_e32 v14, v15, v14
	v_div_scale_f32 v16, vcc_lo, v3, v12, v3
	v_mul_f32_e32 v15, v16, v14
	s_delay_alu instid0(VALU_DEP_1) | instskip(NEXT) | instid1(VALU_DEP_1)
	v_fma_f32 v17, -v13, v15, v16
	v_fmac_f32_e32 v15, v17, v14
	s_delay_alu instid0(VALU_DEP_1) | instskip(NEXT) | instid1(VALU_DEP_1)
	v_fma_f32 v13, -v13, v15, v16
	v_div_fmas_f32 v13, v13, v14, v15
	s_delay_alu instid0(VALU_DEP_1)
	v_div_fixup_f32 v3, v13, v12, v3
	global_store_b32 v[4:5], v3, off
	s_wait_xcnt 0x0
	v_add_nc_u64_e32 v[4:5], s[4:5], v[4:5]
	s_cbranch_scc0 .LBB0_5
.LBB0_6:
	s_endpgm
	.section	.rodata,"a",@progbits
	.p2align	6, 0x0
	.amdhsa_kernel _ZL12ssm_conv_f32ILb1ELm128ELm3EEvPKfS1_S1_iiiiPfiiil
		.amdhsa_group_segment_fixed_size 0
		.amdhsa_private_segment_fixed_size 0
		.amdhsa_kernarg_size 72
		.amdhsa_user_sgpr_count 2
		.amdhsa_user_sgpr_dispatch_ptr 0
		.amdhsa_user_sgpr_queue_ptr 0
		.amdhsa_user_sgpr_kernarg_segment_ptr 1
		.amdhsa_user_sgpr_dispatch_id 0
		.amdhsa_user_sgpr_kernarg_preload_length 0
		.amdhsa_user_sgpr_kernarg_preload_offset 0
		.amdhsa_user_sgpr_private_segment_size 0
		.amdhsa_wavefront_size32 1
		.amdhsa_uses_dynamic_stack 0
		.amdhsa_enable_private_segment 0
		.amdhsa_system_sgpr_workgroup_id_x 1
		.amdhsa_system_sgpr_workgroup_id_y 1
		.amdhsa_system_sgpr_workgroup_id_z 0
		.amdhsa_system_sgpr_workgroup_info 0
		.amdhsa_system_vgpr_workitem_id 0
		.amdhsa_next_free_vgpr 18
		.amdhsa_next_free_sgpr 66
		.amdhsa_named_barrier_count 0
		.amdhsa_reserve_vcc 1
		.amdhsa_float_round_mode_32 0
		.amdhsa_float_round_mode_16_64 0
		.amdhsa_float_denorm_mode_32 3
		.amdhsa_float_denorm_mode_16_64 3
		.amdhsa_fp16_overflow 0
		.amdhsa_memory_ordered 1
		.amdhsa_forward_progress 1
		.amdhsa_inst_pref_size 13
		.amdhsa_round_robin_scheduling 0
		.amdhsa_exception_fp_ieee_invalid_op 0
		.amdhsa_exception_fp_denorm_src 0
		.amdhsa_exception_fp_ieee_div_zero 0
		.amdhsa_exception_fp_ieee_overflow 0
		.amdhsa_exception_fp_ieee_underflow 0
		.amdhsa_exception_fp_ieee_inexact 0
		.amdhsa_exception_int_div_zero 0
	.end_amdhsa_kernel
	.section	.text._ZL12ssm_conv_f32ILb1ELm128ELm3EEvPKfS1_S1_iiiiPfiiil,"axG",@progbits,_ZL12ssm_conv_f32ILb1ELm128ELm3EEvPKfS1_S1_iiiiPfiiil,comdat
.Lfunc_end0:
	.size	_ZL12ssm_conv_f32ILb1ELm128ELm3EEvPKfS1_S1_iiiiPfiiil, .Lfunc_end0-_ZL12ssm_conv_f32ILb1ELm128ELm3EEvPKfS1_S1_iiiiPfiiil
                                        ; -- End function
	.set _ZL12ssm_conv_f32ILb1ELm128ELm3EEvPKfS1_S1_iiiiPfiiil.num_vgpr, 18
	.set _ZL12ssm_conv_f32ILb1ELm128ELm3EEvPKfS1_S1_iiiiPfiiil.num_agpr, 0
	.set _ZL12ssm_conv_f32ILb1ELm128ELm3EEvPKfS1_S1_iiiiPfiiil.numbered_sgpr, 66
	.set _ZL12ssm_conv_f32ILb1ELm128ELm3EEvPKfS1_S1_iiiiPfiiil.num_named_barrier, 0
	.set _ZL12ssm_conv_f32ILb1ELm128ELm3EEvPKfS1_S1_iiiiPfiiil.private_seg_size, 0
	.set _ZL12ssm_conv_f32ILb1ELm128ELm3EEvPKfS1_S1_iiiiPfiiil.uses_vcc, 1
	.set _ZL12ssm_conv_f32ILb1ELm128ELm3EEvPKfS1_S1_iiiiPfiiil.uses_flat_scratch, 0
	.set _ZL12ssm_conv_f32ILb1ELm128ELm3EEvPKfS1_S1_iiiiPfiiil.has_dyn_sized_stack, 0
	.set _ZL12ssm_conv_f32ILb1ELm128ELm3EEvPKfS1_S1_iiiiPfiiil.has_recursion, 0
	.set _ZL12ssm_conv_f32ILb1ELm128ELm3EEvPKfS1_S1_iiiiPfiiil.has_indirect_call, 0
	.section	.AMDGPU.csdata,"",@progbits
; Kernel info:
; codeLenInByte = 1544
; TotalNumSgprs: 68
; NumVgprs: 18
; ScratchSize: 0
; MemoryBound: 0
; FloatMode: 240
; IeeeMode: 1
; LDSByteSize: 0 bytes/workgroup (compile time only)
; SGPRBlocks: 0
; VGPRBlocks: 1
; NumSGPRsForWavesPerEU: 68
; NumVGPRsForWavesPerEU: 18
; NamedBarCnt: 0
; Occupancy: 16
; WaveLimiterHint : 0
; COMPUTE_PGM_RSRC2:SCRATCH_EN: 0
; COMPUTE_PGM_RSRC2:USER_SGPR: 2
; COMPUTE_PGM_RSRC2:TRAP_HANDLER: 0
; COMPUTE_PGM_RSRC2:TGID_X_EN: 1
; COMPUTE_PGM_RSRC2:TGID_Y_EN: 1
; COMPUTE_PGM_RSRC2:TGID_Z_EN: 0
; COMPUTE_PGM_RSRC2:TIDIG_COMP_CNT: 0
	.section	.text._ZL23ssm_conv_long_token_f32ILb1ELm128ELm3ELl32EEvPKfS1_S1_iiiiPfiiil,"axG",@progbits,_ZL23ssm_conv_long_token_f32ILb1ELm128ELm3ELl32EEvPKfS1_S1_iiiiPfiiil,comdat
	.globl	_ZL23ssm_conv_long_token_f32ILb1ELm128ELm3ELl32EEvPKfS1_S1_iiiiPfiiil ; -- Begin function _ZL23ssm_conv_long_token_f32ILb1ELm128ELm3ELl32EEvPKfS1_S1_iiiiPfiiil
	.p2align	8
	.type	_ZL23ssm_conv_long_token_f32ILb1ELm128ELm3ELl32EEvPKfS1_S1_iiiiPfiiil,@function
_ZL23ssm_conv_long_token_f32ILb1ELm128ELm3ELl32EEvPKfS1_S1_iiiiPfiiil: ; @_ZL23ssm_conv_long_token_f32ILb1ELm128ELm3ELl32EEvPKfS1_S1_iiiiPfiiil
; %bb.0:
	v_mul_u32_u24_e32 v1, 0x788, v0
	s_bfe_u32 s3, ttmp6, 0x40010
	s_and_b32 s2, ttmp7, 0xffff
	s_add_co_i32 s5, s3, 1
	s_bfe_u32 s4, ttmp6, 0x40004
	v_lshrrev_b32_e32 v3, 16, v1
	s_mul_i32 s5, s2, s5
	s_getreg_b32 s8, hwreg(HW_REG_IB_STS2, 6, 4)
	s_add_co_i32 s9, s4, s5
	s_cmp_eq_u32 s8, 0
	v_mul_lo_u16 v1, v3, 34
	s_clause 0x1
	s_load_b64 s[10:11], s[0:1], 0x0
	s_load_b128 s[4:7], s[0:1], 0x18
	s_cselect_b32 s2, s2, s9
	s_bfe_u32 s12, ttmp6, 0x40014
	s_lshr_b32 s9, ttmp7, 16
	v_sub_nc_u16 v16, v0, v1
	s_add_co_i32 s12, s12, 1
	s_bfe_u32 s14, ttmp6, 0x40008
	s_mul_i32 s12, s9, s12
	s_mov_b32 s3, 0
	v_or_b32_e32 v1, 0x80, v16
	s_add_co_i32 s14, s14, s12
	s_cmp_eq_u32 s8, 0
	v_and_b32_e32 v16, 0xffff, v16
	s_cselect_b32 s9, s9, s14
	v_mul_lo_u16 v2, 0xf1, v1
	s_bfe_u32 s12, ttmp6, 0x4000c
	s_and_b32 s15, ttmp6, 15
	s_add_co_i32 s12, s12, 1
	s_mov_b32 s13, s3
	v_lshrrev_b16 v17, 13, v2
	s_mul_i32 s12, ttmp9, s12
	s_wait_kmcnt 0x0
	s_mov_b32 s18, s4
	s_add_co_i32 s15, s15, s12
	s_cmp_eq_u32 s8, 0
	v_mul_lo_u16 v2, v17, 34
	v_and_b32_e32 v17, 0xffff, v17
	s_cselect_b32 s16, ttmp9, s15
	s_ashr_i32 s8, s5, 2
	s_ashr_i32 s19, s4, 31
	v_sub_nc_u16 v1, v1, v2
	s_mul_i32 s4, s6, s16
	s_mov_b32 s14, s5
	s_lshl_b32 s2, s2, 7
	s_ashr_i32 s15, s5, 31
	v_and_b32_e32 v1, 0xff, v1
	s_ashr_i32 s5, s4, 31
	s_lshl_b32 s12, s9, 5
	s_mul_u64 s[14:15], s[2:3], s[14:15]
	s_add_nc_u64 s[4:5], s[10:11], s[4:5]
	v_or_b32_e32 v2, 0x80, v1
	s_mul_u64 s[18:19], s[12:13], s[18:19]
	s_add_nc_u64 s[4:5], s[4:5], s[14:15]
	s_mov_b32 s6, exec_lo
	s_add_nc_u64 s[4:5], s[4:5], s[18:19]
	v_mul_lo_u16 v4, 0xf1, v2
	s_delay_alu instid0(VALU_DEP_1) | instskip(NEXT) | instid1(VALU_DEP_1)
	v_lshrrev_b16 v18, 13, v4
	v_mul_lo_u16 v4, v18, 34
	v_and_b32_e32 v18, 0xffff, v18
	s_delay_alu instid0(VALU_DEP_2) | instskip(NEXT) | instid1(VALU_DEP_1)
	v_sub_nc_u16 v2, v2, v4
	v_and_b32_e32 v2, 0xff, v2
	s_delay_alu instid0(VALU_DEP_1) | instskip(NEXT) | instid1(VALU_DEP_1)
	v_or_b32_e32 v4, 0x80, v2
	v_mul_lo_u16 v5, 0xf1, v4
	s_delay_alu instid0(VALU_DEP_1) | instskip(NEXT) | instid1(VALU_DEP_1)
	v_lshrrev_b16 v19, 13, v5
	v_mul_lo_u16 v5, v19, 34
	v_and_b32_e32 v19, 0xffff, v19
	v_add_nc_u32_e32 v17, v3, v17
	s_delay_alu instid0(VALU_DEP_3) | instskip(NEXT) | instid1(VALU_DEP_2)
	v_sub_nc_u16 v4, v4, v5
	v_add_nc_u32_e32 v18, v17, v18
	v_mad_u32 v37, s8, v3, v16
	v_mul_u32_u24_e32 v3, 0x88, v3
	s_delay_alu instid0(VALU_DEP_4) | instskip(NEXT) | instid1(VALU_DEP_4)
	v_and_b32_e32 v4, 0xff, v4
	v_dual_lshlrev_b32 v16, 2, v16 :: v_dual_add_nc_u32 v19, v18, v19
	v_mad_u32 v38, v17, s8, v1
	v_mad_u32 v40, v18, s8, v2
	s_delay_alu instid0(VALU_DEP_4)
	v_or_b32_e32 v5, 0x80, v4
	s_clause 0x1
	global_load_b32 v43, v37, s[4:5] scale_offset
	global_load_b32 v44, v38, s[4:5] scale_offset
	v_mul_lo_u16 v6, 0xf1, v5
	v_mad_u32 v41, v19, s8, v4
	v_dual_lshlrev_b32 v2, 2, v2 :: v_dual_lshlrev_b32 v4, 2, v4
	v_add3_u32 v3, 0, v3, v16
	s_delay_alu instid0(VALU_DEP_4) | instskip(SKIP_1) | instid1(VALU_DEP_2)
	v_lshrrev_b16 v20, 13, v6
	v_lshlrev_b32_e32 v1, 2, v1
	v_mul_lo_u16 v6, v20, 34
	v_and_b32_e32 v20, 0xffff, v20
	s_delay_alu instid0(VALU_DEP_2) | instskip(NEXT) | instid1(VALU_DEP_1)
	v_sub_nc_u16 v5, v5, v6
	v_and_b32_e32 v5, 0xff, v5
	s_delay_alu instid0(VALU_DEP_1) | instskip(NEXT) | instid1(VALU_DEP_1)
	v_or_b32_e32 v6, 0x80, v5
	v_mul_lo_u16 v7, 0xf1, v6
	s_delay_alu instid0(VALU_DEP_1) | instskip(NEXT) | instid1(VALU_DEP_1)
	v_lshrrev_b16 v21, 13, v7
	v_mul_lo_u16 v7, v21, 34
	v_and_b32_e32 v21, 0xffff, v21
	s_delay_alu instid0(VALU_DEP_2) | instskip(NEXT) | instid1(VALU_DEP_1)
	v_sub_nc_u16 v6, v6, v7
	v_and_b32_e32 v6, 0xff, v6
	s_delay_alu instid0(VALU_DEP_1) | instskip(NEXT) | instid1(VALU_DEP_1)
	v_or_b32_e32 v7, 0x80, v6
	v_mul_lo_u16 v8, 0xf1, v7
	s_delay_alu instid0(VALU_DEP_1) | instskip(NEXT) | instid1(VALU_DEP_1)
	v_lshrrev_b16 v22, 13, v8
	v_mul_lo_u16 v8, v22, 34
	v_and_b32_e32 v22, 0xffff, v22
	v_add_nc_u32_e32 v20, v19, v20
	s_delay_alu instid0(VALU_DEP_3) | instskip(NEXT) | instid1(VALU_DEP_1)
	v_sub_nc_u16 v7, v7, v8
	v_and_b32_e32 v7, 0xff, v7
	s_delay_alu instid0(VALU_DEP_1) | instskip(NEXT) | instid1(VALU_DEP_1)
	v_or_b32_e32 v8, 0x80, v7
	v_mul_lo_u16 v9, 0xf1, v8
	s_delay_alu instid0(VALU_DEP_1) | instskip(NEXT) | instid1(VALU_DEP_1)
	v_lshrrev_b16 v23, 13, v9
	v_mul_lo_u16 v9, v23, 34
	v_and_b32_e32 v23, 0xffff, v23
	v_add_nc_u32_e32 v21, v20, v21
	s_delay_alu instid0(VALU_DEP_3) | instskip(NEXT) | instid1(VALU_DEP_2)
	v_sub_nc_u16 v8, v8, v9
	v_add_nc_u32_e32 v22, v21, v22
	s_delay_alu instid0(VALU_DEP_2) | instskip(NEXT) | instid1(VALU_DEP_2)
	v_and_b32_e32 v8, 0xff, v8
	v_add_nc_u32_e32 v23, v22, v23
	v_mad_u32 v42, v21, s8, v6
	v_lshlrev_b32_e32 v6, 2, v6
	s_delay_alu instid0(VALU_DEP_4) | instskip(NEXT) | instid1(VALU_DEP_1)
	v_or_b32_e32 v9, 0x80, v8
	v_mul_lo_u16 v10, 0xf1, v9
	s_delay_alu instid0(VALU_DEP_1) | instskip(NEXT) | instid1(VALU_DEP_1)
	v_lshrrev_b16 v24, 13, v10
	v_mul_lo_u16 v10, v24, 34
	v_and_b32_e32 v24, 0xffff, v24
	s_delay_alu instid0(VALU_DEP_2) | instskip(NEXT) | instid1(VALU_DEP_1)
	v_sub_nc_u16 v9, v9, v10
	v_and_b32_e32 v9, 0xff, v9
	s_delay_alu instid0(VALU_DEP_1) | instskip(NEXT) | instid1(VALU_DEP_1)
	v_or_b32_e32 v10, 0x80, v9
	v_mul_lo_u16 v11, 0xf1, v10
	s_delay_alu instid0(VALU_DEP_1) | instskip(NEXT) | instid1(VALU_DEP_1)
	v_lshrrev_b16 v25, 13, v11
	v_mul_lo_u16 v11, v25, 34
	v_and_b32_e32 v25, 0xffff, v25
	s_delay_alu instid0(VALU_DEP_2) | instskip(NEXT) | instid1(VALU_DEP_1)
	v_sub_nc_u16 v10, v10, v11
	v_and_b32_e32 v10, 0xff, v10
	s_delay_alu instid0(VALU_DEP_1) | instskip(NEXT) | instid1(VALU_DEP_1)
	v_or_b32_e32 v11, 0x80, v10
	v_mul_lo_u16 v12, 0xf1, v11
	s_delay_alu instid0(VALU_DEP_1) | instskip(NEXT) | instid1(VALU_DEP_1)
	v_lshrrev_b16 v26, 13, v12
	v_mul_lo_u16 v12, v26, 34
	v_and_b32_e32 v26, 0xffff, v26
	v_add_nc_u32_e32 v24, v23, v24
	s_delay_alu instid0(VALU_DEP_3) | instskip(NEXT) | instid1(VALU_DEP_1)
	v_sub_nc_u16 v11, v11, v12
	v_and_b32_e32 v11, 0xff, v11
	s_delay_alu instid0(VALU_DEP_1) | instskip(NEXT) | instid1(VALU_DEP_1)
	v_or_b32_e32 v12, 0x80, v11
	v_mul_lo_u16 v13, 0xf1, v12
	s_delay_alu instid0(VALU_DEP_1) | instskip(NEXT) | instid1(VALU_DEP_1)
	v_lshrrev_b16 v27, 13, v13
	v_mul_lo_u16 v13, v27, 34
	v_and_b32_e32 v27, 0xffff, v27
	v_add_nc_u32_e32 v25, v24, v25
	s_delay_alu instid0(VALU_DEP_3) | instskip(NEXT) | instid1(VALU_DEP_2)
	v_sub_nc_u16 v12, v12, v13
	v_add_nc_u32_e32 v26, v25, v26
	s_delay_alu instid0(VALU_DEP_2) | instskip(NEXT) | instid1(VALU_DEP_2)
	v_and_b32_e32 v12, 0xff, v12
	v_add_nc_u32_e32 v27, v26, v27
	v_mad_u32 v48, v25, s8, v10
	v_mad_u32 v49, v26, s8, v11
	s_delay_alu instid0(VALU_DEP_4) | instskip(NEXT) | instid1(VALU_DEP_4)
	v_or_b32_e32 v13, 0x80, v12
	v_mad_u32 v51, v27, s8, v12
	s_delay_alu instid0(VALU_DEP_2) | instskip(NEXT) | instid1(VALU_DEP_1)
	v_mul_lo_u16 v14, 0xf1, v13
	v_lshrrev_b16 v28, 13, v14
	s_delay_alu instid0(VALU_DEP_1) | instskip(SKIP_1) | instid1(VALU_DEP_2)
	v_mul_lo_u16 v14, v28, 34
	v_and_b32_e32 v28, 0xffff, v28
	v_sub_nc_u16 v13, v13, v14
	s_delay_alu instid0(VALU_DEP_1) | instskip(NEXT) | instid1(VALU_DEP_1)
	v_and_b32_e32 v13, 0xff, v13
	v_or_b32_e32 v14, 0x80, v13
	s_delay_alu instid0(VALU_DEP_1) | instskip(NEXT) | instid1(VALU_DEP_1)
	v_mul_lo_u16 v15, 0xf1, v14
	v_lshrrev_b16 v29, 13, v15
	s_delay_alu instid0(VALU_DEP_1) | instskip(SKIP_1) | instid1(VALU_DEP_2)
	v_mul_lo_u16 v15, v29, 34
	v_and_b32_e32 v29, 0xffff, v29
	v_sub_nc_u16 v14, v14, v15
	s_delay_alu instid0(VALU_DEP_1) | instskip(NEXT) | instid1(VALU_DEP_1)
	v_and_b32_e32 v14, 0xff, v14
	v_or_b32_e32 v15, 0x80, v14
	s_delay_alu instid0(VALU_DEP_1) | instskip(NEXT) | instid1(VALU_DEP_1)
	v_mul_lo_u16 v30, 0xf1, v15
	v_lshrrev_b16 v30, 13, v30
	s_delay_alu instid0(VALU_DEP_1) | instskip(SKIP_2) | instid1(VALU_DEP_3)
	v_mul_lo_u16 v31, v30, 34
	v_and_b32_e32 v30, 0xffff, v30
	v_add_nc_u32_e32 v28, v27, v28
	v_sub_nc_u16 v15, v15, v31
	s_delay_alu instid0(VALU_DEP_1) | instskip(NEXT) | instid1(VALU_DEP_1)
	v_and_b32_e32 v15, 0xff, v15
	v_or_b32_e32 v31, 0x80, v15
	s_delay_alu instid0(VALU_DEP_1) | instskip(NEXT) | instid1(VALU_DEP_1)
	v_mul_lo_u16 v32, 0xf1, v31
	v_lshrrev_b16 v32, 13, v32
	s_delay_alu instid0(VALU_DEP_1) | instskip(SKIP_2) | instid1(VALU_DEP_3)
	v_mul_lo_u16 v33, v32, 34
	v_and_b32_e32 v32, 0xffff, v32
	v_add_nc_u32_e32 v29, v28, v29
	v_sub_nc_u16 v31, v31, v33
	s_delay_alu instid0(VALU_DEP_2) | instskip(NEXT) | instid1(VALU_DEP_2)
	v_add_nc_u32_e32 v30, v29, v30
	v_and_b32_e32 v31, 0xff, v31
	s_delay_alu instid0(VALU_DEP_2) | instskip(NEXT) | instid1(VALU_DEP_2)
	v_add_nc_u32_e32 v32, v30, v32
	v_or_b32_e32 v33, 0x80, v31
	s_delay_alu instid0(VALU_DEP_2) | instskip(NEXT) | instid1(VALU_DEP_2)
	v_mad_u32 v56, v32, s8, v31
	v_mul_lo_u16 v34, 0xf1, v33
	s_delay_alu instid0(VALU_DEP_1) | instskip(NEXT) | instid1(VALU_DEP_1)
	v_lshrrev_b16 v34, 13, v34
	v_mul_lo_u16 v35, v34, 34
	v_and_b32_e32 v34, 0xffff, v34
	s_delay_alu instid0(VALU_DEP_2) | instskip(NEXT) | instid1(VALU_DEP_2)
	v_sub_nc_u16 v33, v33, v35
	v_add_nc_u32_e32 v34, v32, v34
	s_delay_alu instid0(VALU_DEP_2) | instskip(NEXT) | instid1(VALU_DEP_1)
	v_and_b32_e32 v33, 0xff, v33
	v_or_b32_e32 v35, 0x80, v33
	s_delay_alu instid0(VALU_DEP_3) | instskip(NEXT) | instid1(VALU_DEP_2)
	v_mad_u32 v16, v34, s8, v33
	v_mul_lo_u16 v36, 0xf1, v35
	s_delay_alu instid0(VALU_DEP_1) | instskip(NEXT) | instid1(VALU_DEP_1)
	v_lshrrev_b16 v36, 13, v36
	v_mul_lo_u16 v39, v36, 34
	v_and_b32_e32 v36, 0xffff, v36
	s_delay_alu instid0(VALU_DEP_2)
	v_sub_nc_u16 v35, v35, v39
	v_mad_u32 v39, v20, s8, v5
	s_clause 0x3
	global_load_b32 v38, v40, s[4:5] scale_offset
	global_load_b32 v45, v41, s[4:5] scale_offset
	;; [unrolled: 1-line block ×4, first 2 shown]
	v_and_b32_e32 v35, 0xff, v35
	s_wait_xcnt 0x3
	v_mad_u32 v40, v22, s8, v7
	s_wait_xcnt 0x2
	v_mad_u32 v41, v23, s8, v8
	;; [unrolled: 2-line block ×3, first 2 shown]
	v_lshlrev_b32_e32 v5, 2, v5
	v_or_b32_e32 v37, 0x80, v35
	s_delay_alu instid0(VALU_DEP_1) | instskip(NEXT) | instid1(VALU_DEP_1)
	v_mul_lo_u16 v39, 0xf1, v37
	v_lshrrev_b16 v39, 13, v39
	s_delay_alu instid0(VALU_DEP_1) | instskip(SKIP_1) | instid1(VALU_DEP_2)
	v_mul_lo_u16 v50, v39, 34
	v_and_b32_e32 v39, 0xffff, v39
	v_sub_nc_u16 v37, v37, v50
	s_clause 0x5
	global_load_b32 v50, v40, s[4:5] scale_offset
	global_load_b32 v52, v41, s[4:5] scale_offset
	;; [unrolled: 1-line block ×6, first 2 shown]
	s_wait_xcnt 0x3
	v_mad_u32 v42, v28, s8, v13
	s_wait_xcnt 0x1
	v_mad_u32 v49, v29, s8, v14
	v_and_b32_e32 v37, 0xff, v37
	s_wait_xcnt 0x0
	v_mad_u32 v51, v30, s8, v15
	s_clause 0x3
	global_load_b32 v58, v42, s[4:5] scale_offset
	global_load_b32 v59, v49, s[4:5] scale_offset
	;; [unrolled: 1-line block ×4, first 2 shown]
	v_or_b32_e32 v48, 0x80, v37
	s_delay_alu instid0(VALU_DEP_1) | instskip(NEXT) | instid1(VALU_DEP_1)
	v_mul_lo_u16 v55, 0xf1, v48
	v_lshrrev_b16 v55, 13, v55
	s_delay_alu instid0(VALU_DEP_1) | instskip(SKIP_3) | instid1(VALU_DEP_3)
	v_mul_lo_u16 v57, v55, 34
	s_wait_xcnt 0x3
	v_and_b32_e32 v42, 0xffff, v55
	v_add_nc_u32_e32 v36, v34, v36
	v_sub_nc_u16 v48, v48, v57
	s_delay_alu instid0(VALU_DEP_2) | instskip(NEXT) | instid1(VALU_DEP_2)
	v_add_nc_u32_e32 v39, v36, v39
	v_and_b32_e32 v48, 0xff, v48
	s_delay_alu instid0(VALU_DEP_2)
	v_add_nc_u32_e32 v42, v39, v42
	s_wait_xcnt 0x2
	v_mad_u32 v49, v36, s8, v35
	s_wait_xcnt 0x1
	v_mad_u32 v51, v39, s8, v37
	v_mad_u32 v55, v42, s8, v48
	s_clause 0x3
	global_load_b32 v56, v16, s[4:5] scale_offset
	global_load_b32 v57, v49, s[4:5] scale_offset
	;; [unrolled: 1-line block ×4, first 2 shown]
	s_wait_xcnt 0x3
	v_mul_u32_u24_e32 v16, 0x88, v17
	s_wait_loadcnt 0x13
	ds_store_b32 v3, v43
	v_mul_u32_u24_e32 v3, 0x88, v19
	v_add3_u32 v1, 0, v16, v1
	v_mul_u32_u24_e32 v16, 0x88, v18
	s_delay_alu instid0(VALU_DEP_3)
	v_add3_u32 v3, 0, v3, v4
	v_mul_u32_u24_e32 v4, 0x88, v21
	s_wait_loadcnt 0x12
	ds_store_b32 v1, v44
	v_add3_u32 v1, 0, v16, v2
	v_mul_u32_u24_e32 v2, 0x88, v20
	s_wait_loadcnt 0x11
	ds_store_b32 v1, v38
	v_add3_u32 v1, 0, v2, v5
	v_mul_lo_u32 v2, 0x88, v22
	s_wait_loadcnt 0x10
	ds_store_b32 v3, v45
	v_add3_u32 v3, 0, v4, v6
	v_mul_lo_u32 v4, 0x88, v23
	v_mul_lo_u32 v5, 0x88, v24
	;; [unrolled: 1-line block ×3, first 2 shown]
	s_wait_loadcnt 0xf
	ds_store_b32 v1, v46
	v_lshlrev_b32_e32 v1, 2, v7
	s_wait_loadcnt 0xe
	ds_store_b32 v3, v47
	v_dual_lshlrev_b32 v3, 2, v8 :: v_dual_lshlrev_b32 v7, 2, v9
	v_mul_lo_u32 v8, 0x88, v26
	v_add3_u32 v1, 0, v2, v1
	v_lshlrev_b32_e32 v2, 2, v10
	s_delay_alu instid0(VALU_DEP_4)
	v_add3_u32 v3, 0, v4, v3
	v_add3_u32 v4, 0, v5, v7
	v_mul_lo_u32 v5, 0x88, v27
	v_dual_lshlrev_b32 v9, 2, v37 :: v_dual_lshlrev_b32 v7, 2, v14
	v_lshlrev_b32_e32 v10, 2, v48
	s_wait_loadcnt 0xd
	ds_store_b32 v1, v50
	v_add3_u32 v1, 0, v6, v2
	v_lshlrev_b32_e32 v2, 2, v11
	s_wait_loadcnt 0xc
	ds_store_b32 v3, v52
	s_wait_loadcnt 0xb
	ds_store_b32 v4, v40
	v_lshlrev_b32_e32 v3, 2, v12
	v_mul_lo_u32 v4, 0x88, v29
	s_wait_loadcnt 0xa
	ds_store_b32 v1, v41
	v_add3_u32 v1, 0, v8, v2
	v_mul_lo_u32 v2, 0x88, v28
	v_add3_u32 v3, 0, v5, v3
	v_mul_lo_u32 v5, 0x88, v30
	v_mul_lo_u32 v6, 0x88, v32
	s_wait_loadcnt 0x9
	ds_store_b32 v1, v53
	v_lshlrev_b32_e32 v1, 2, v13
	s_wait_loadcnt 0x8
	ds_store_b32 v3, v54
	v_lshlrev_b32_e32 v3, 2, v15
	v_lshlrev_b32_e32 v8, 2, v31
	v_add3_u32 v1, 0, v2, v1
	v_add3_u32 v2, 0, v4, v7
	v_or_b32_e32 v4, 0x80, v48
	v_add3_u32 v3, 0, v5, v3
	v_add3_u32 v5, 0, v6, v8
	v_mul_lo_u32 v6, 0x88, v34
	s_wait_loadcnt 0x7
	ds_store_b32 v1, v58
	v_mul_lo_u16 v1, 0xf1, v4
	s_wait_loadcnt 0x6
	ds_store_b32 v2, v59
	s_wait_loadcnt 0x5
	ds_store_b32 v3, v60
	;; [unrolled: 2-line block ×3, first 2 shown]
	v_lshlrev_b32_e32 v2, 2, v33
	v_mul_lo_u32 v3, 0x88, v36
	v_mul_lo_u32 v5, 0x88, v39
	v_lshrrev_b16 v1, 13, v1
	v_mul_lo_u32 v7, 0x88, v42
	v_lshlrev_b32_e32 v8, 2, v35
	v_add3_u32 v6, 0, v6, v2
	s_delay_alu instid0(VALU_DEP_4) | instskip(SKIP_1) | instid1(VALU_DEP_4)
	v_mul_lo_u16 v2, v1, 34
	v_and_b32_e32 v1, 0xffff, v1
	v_add3_u32 v3, 0, v3, v8
	s_delay_alu instid0(VALU_DEP_3) | instskip(NEXT) | instid1(VALU_DEP_3)
	v_sub_nc_u16 v2, v4, v2
	v_add_nc_u32_e32 v1, v42, v1
	v_add3_u32 v4, 0, v5, v9
	v_add3_u32 v5, 0, v7, v10
	s_wait_loadcnt 0x3
	ds_store_b32 v6, v56
	s_wait_loadcnt 0x2
	ds_store_b32 v3, v57
	;; [unrolled: 2-line block ×4, first 2 shown]
	v_and_b32_e32 v2, 0xff, v2
	v_cmpx_gt_u32_e32 0x80, v1
	s_cbranch_execz .LBB1_2
; %bb.1:
	s_delay_alu instid0(VALU_DEP_2)
	v_mad_u32 v3, v1, s8, v2
	v_mul_lo_u32 v4, 0x88, v1
	v_lshlrev_b32_e32 v5, 2, v2
	global_load_b32 v3, v3, s[4:5] scale_offset
	v_add3_u32 v4, 0, v4, v5
	s_wait_loadcnt 0x0
	ds_store_b32 v4, v3
.LBB1_2:
	s_or_b32 exec_lo, exec_lo, s6
	s_delay_alu instid0(VALU_DEP_2) | instskip(SKIP_1) | instid1(VALU_DEP_1)
	v_or_b32_e32 v2, 0x80, v2
	s_mov_b32 s6, exec_lo
	v_mul_lo_u16 v3, 0xf1, v2
	s_delay_alu instid0(VALU_DEP_1) | instskip(NEXT) | instid1(VALU_DEP_1)
	v_lshrrev_b16 v3, 13, v3
	v_mul_lo_u16 v4, v3, 34
	v_and_b32_e32 v3, 0xffff, v3
	s_delay_alu instid0(VALU_DEP_2) | instskip(NEXT) | instid1(VALU_DEP_2)
	v_sub_nc_u16 v2, v2, v4
	v_add_nc_u32_e32 v1, v1, v3
	s_delay_alu instid0(VALU_DEP_2) | instskip(NEXT) | instid1(VALU_DEP_2)
	v_and_b32_e32 v2, 0xff, v2
	v_cmpx_gt_u32_e32 0x80, v1
	s_cbranch_execz .LBB1_4
; %bb.3:
	s_delay_alu instid0(VALU_DEP_2)
	v_mad_u32 v3, v1, s8, v2
	v_mul_lo_u32 v4, 0x88, v1
	v_lshlrev_b32_e32 v5, 2, v2
	global_load_b32 v3, v3, s[4:5] scale_offset
	v_add3_u32 v4, 0, v4, v5
	s_wait_loadcnt 0x0
	ds_store_b32 v4, v3
.LBB1_4:
	s_or_b32 exec_lo, exec_lo, s6
	s_delay_alu instid0(VALU_DEP_2) | instskip(SKIP_1) | instid1(VALU_DEP_1)
	v_or_b32_e32 v2, 0x80, v2
	s_mov_b32 s6, exec_lo
	v_mul_lo_u16 v3, 0xf1, v2
	s_delay_alu instid0(VALU_DEP_1) | instskip(NEXT) | instid1(VALU_DEP_1)
	v_lshrrev_b16 v3, 13, v3
	v_mul_lo_u16 v4, v3, 34
	v_and_b32_e32 v3, 0xffff, v3
	s_delay_alu instid0(VALU_DEP_2) | instskip(NEXT) | instid1(VALU_DEP_2)
	v_sub_nc_u16 v2, v2, v4
	v_add_nc_u32_e32 v1, v1, v3
	s_delay_alu instid0(VALU_DEP_2) | instskip(NEXT) | instid1(VALU_DEP_2)
	;; [unrolled: 26-line block ×6, first 2 shown]
	v_and_b32_e32 v2, 0xff, v2
	v_cmpx_gt_u32_e32 0x80, v1
	s_cbranch_execz .LBB1_14
; %bb.13:
	s_delay_alu instid0(VALU_DEP_2)
	v_mad_u32 v3, v1, s8, v2
	v_mul_lo_u32 v4, 0x88, v1
	v_lshlrev_b32_e32 v5, 2, v2
	global_load_b32 v3, v3, s[4:5] scale_offset
	v_add3_u32 v4, 0, v4, v5
	s_wait_loadcnt 0x0
	ds_store_b32 v4, v3
.LBB1_14:
	s_or_b32 exec_lo, exec_lo, s6
	s_delay_alu instid0(SALU_CYCLE_1)
	s_mov_b32 s6, exec_lo
	v_cmpx_gt_u32_e32 0x380, v0
	s_cbranch_execz .LBB1_35
; %bb.15:
	v_or_b32_e32 v2, 0x80, v2
	s_mov_b32 s9, exec_lo
	s_delay_alu instid0(VALU_DEP_1) | instskip(NEXT) | instid1(VALU_DEP_1)
	v_mul_lo_u16 v3, 0xf1, v2
	v_lshrrev_b16 v3, 13, v3
	s_delay_alu instid0(VALU_DEP_1) | instskip(SKIP_1) | instid1(VALU_DEP_2)
	v_mul_lo_u16 v4, v3, 34
	v_and_b32_e32 v3, 0xffff, v3
	v_sub_nc_u16 v2, v2, v4
	s_delay_alu instid0(VALU_DEP_2) | instskip(NEXT) | instid1(VALU_DEP_2)
	v_add_nc_u32_e32 v1, v1, v3
	v_and_b32_e32 v2, 0xff, v2
	s_delay_alu instid0(VALU_DEP_2)
	v_cmpx_gt_u32_e32 0x80, v1
	s_cbranch_execz .LBB1_17
; %bb.16:
	s_delay_alu instid0(VALU_DEP_2)
	v_mad_u32 v3, v1, s8, v2
	v_mul_lo_u32 v4, 0x88, v1
	v_lshlrev_b32_e32 v5, 2, v2
	global_load_b32 v3, v3, s[4:5] scale_offset
	v_add3_u32 v4, 0, v4, v5
	s_wait_loadcnt 0x0
	ds_store_b32 v4, v3
.LBB1_17:
	s_or_b32 exec_lo, exec_lo, s9
	v_cmp_gt_u32_e32 vcc_lo, 0x300, v0
	s_and_b32 exec_lo, exec_lo, vcc_lo
	s_cbranch_execz .LBB1_35
; %bb.18:
	v_or_b32_e32 v2, 0x80, v2
	s_mov_b32 s9, exec_lo
	s_delay_alu instid0(VALU_DEP_1) | instskip(NEXT) | instid1(VALU_DEP_1)
	v_mul_lo_u16 v3, 0xf1, v2
	v_lshrrev_b16 v3, 13, v3
	s_delay_alu instid0(VALU_DEP_1) | instskip(SKIP_1) | instid1(VALU_DEP_2)
	v_mul_lo_u16 v4, v3, 34
	v_and_b32_e32 v3, 0xffff, v3
	v_sub_nc_u16 v2, v2, v4
	s_delay_alu instid0(VALU_DEP_2) | instskip(NEXT) | instid1(VALU_DEP_2)
	v_add_nc_u32_e32 v1, v1, v3
	v_and_b32_e32 v2, 0xff, v2
	s_delay_alu instid0(VALU_DEP_2)
	v_cmpx_gt_u32_e32 0x80, v1
	s_cbranch_execz .LBB1_20
; %bb.19:
	s_delay_alu instid0(VALU_DEP_2)
	v_mad_u32 v3, v1, s8, v2
	v_mul_lo_u32 v4, 0x88, v1
	v_lshlrev_b32_e32 v5, 2, v2
	global_load_b32 v3, v3, s[4:5] scale_offset
	v_add3_u32 v4, 0, v4, v5
	s_wait_loadcnt 0x0
	ds_store_b32 v4, v3
.LBB1_20:
	s_or_b32 exec_lo, exec_lo, s9
	v_cmp_gt_u32_e32 vcc_lo, 0x280, v0
	s_and_b32 exec_lo, exec_lo, vcc_lo
	;; [unrolled: 30-line block ×6, first 2 shown]
	s_cbranch_execz .LBB1_35
; %bb.33:
	v_or_b32_e32 v2, 0x80, v2
	s_delay_alu instid0(VALU_DEP_1) | instskip(NEXT) | instid1(VALU_DEP_1)
	v_mul_lo_u16 v3, 0xf1, v2
	v_lshrrev_b16 v3, 13, v3
	s_delay_alu instid0(VALU_DEP_1) | instskip(NEXT) | instid1(VALU_DEP_1)
	v_and_b32_e32 v4, 0xffff, v3
	v_add_nc_u32_e32 v1, v1, v4
	s_delay_alu instid0(VALU_DEP_1)
	v_cmp_gt_u32_e32 vcc_lo, 0x80, v1
	s_and_b32 exec_lo, exec_lo, vcc_lo
	s_cbranch_execz .LBB1_35
; %bb.34:
	v_mul_lo_u16 v3, v3, 34
	s_delay_alu instid0(VALU_DEP_1) | instskip(NEXT) | instid1(VALU_DEP_1)
	v_sub_nc_u16 v2, v2, v3
	v_and_b32_e32 v2, 0xff, v2
	s_delay_alu instid0(VALU_DEP_1)
	v_mad_u32 v3, v1, s8, v2
	v_mul_lo_u32 v1, 0x88, v1
	v_lshlrev_b32_e32 v2, 2, v2
	global_load_b32 v3, v3, s[4:5] scale_offset
	v_add3_u32 v1, 0, v1, v2
	s_wait_loadcnt 0x0
	ds_store_b32 v1, v3
.LBB1_35:
	s_or_b32 exec_lo, exec_lo, s6
	s_clause 0x1
	s_load_b128 s[8:11], s[0:1], 0x8
	s_load_b64 s[14:15], s[0:1], 0x28
	s_ashr_i32 s4, s7, 2
	s_ashr_i32 s5, s7, 31
	v_mul_lo_u32 v2, s4, v0
	s_mov_b32 s4, s7
	s_wait_dscnt 0x0
	s_mul_u64 s[4:5], s[2:3], s[4:5]
	s_barrier_signal -1
	s_barrier_wait -1
	s_delay_alu instid0(VALU_DEP_1) | instskip(SKIP_3) | instid1(VALU_DEP_1)
	v_ashrrev_i32_e32 v3, 31, v2
	s_wait_kmcnt 0x0
	s_add_nc_u64 s[4:5], s[8:9], s[4:5]
	s_cmp_eq_u64 s[10:11], 0
	v_lshl_add_u64 v[2:3], v[2:3], 2, s[4:5]
	global_load_b96 v[2:4], v[2:3], off
	s_cbranch_scc1 .LBB1_37
; %bb.36:
	s_lshl_b64 s[4:5], s[2:3], 2
	s_delay_alu instid0(SALU_CYCLE_1)
	s_add_nc_u64 s[4:5], s[10:11], s[4:5]
	global_load_b32 v6, v0, s[4:5] scale_offset
	s_branch .LBB1_38
.LBB1_37:
	v_mov_b32_e32 v6, 0
.LBB1_38:
	s_wait_xcnt 0x0
	s_load_b64 s[4:5], s[0:1], 0x40
	s_wait_kmcnt 0x0
	s_sub_nc_u64 s[6:7], s[4:5], s[12:13]
	s_delay_alu instid0(SALU_CYCLE_1)
	v_cmp_lt_i64_e64 s4, s[6:7], 1
	s_and_b32 vcc_lo, exec_lo, s4
	s_cbranch_vccnz .LBB1_46
; %bb.39:
	v_min_u64 v[10:11], s[6:7], 32
	s_load_b96 s[8:10], s[0:1], 0x30
	s_wait_loadcnt 0x0
	v_dual_mov_b32 v8, v3 :: v_dual_mov_b32 v9, v4
	v_mul_u32_u24_e32 v18, 0x88, v0
	v_dual_mov_b32 v1, 0 :: v_dual_lshlrev_b32 v0, 2, v0
	s_wait_kmcnt 0x0
	s_mul_i32 s0, s10, s16
	s_ashr_i32 s11, s9, 31
	s_ashr_i32 s17, s8, 31
	;; [unrolled: 1-line block ×4, first 2 shown]
	s_cmp_eq_u64 s[6:7], 1
	s_mov_b32 s16, s8
	s_cselect_b32 s5, -1, 0
	s_cmp_lg_u32 s4, 1
	s_mov_b32 s10, s9
	s_cselect_b32 s8, -1, 0
	s_mul_u64 s[6:7], s[12:13], s[10:11]
	s_or_b32 s5, s5, s8
	s_mul_u64 s[8:9], s[2:3], s[16:17]
	s_delay_alu instid0(VALU_DEP_4)
	v_readfirstlane_b32 s2, v10
	v_readfirstlane_b32 s3, v11
	s_and_b32 vcc_lo, exec_lo, s5
	s_add_nc_u64 s[10:11], s[14:15], s[0:1]
	s_cbranch_vccnz .LBB1_43
; %bb.40:
	v_dual_mov_b32 v14, v2 :: v_dual_add_nc_u32 v19, 0, v18
	s_add_nc_u64 s[0:1], s[10:11], s[6:7]
	v_dual_mov_b32 v15, v2 :: v_dual_mov_b32 v16, v8
	ds_load_2addr_b32 v[10:11], v19 offset1:1
	s_add_nc_u64 s[0:1], s[0:1], s[8:9]
	v_dual_mov_b32 v17, v3 :: v_dual_mov_b32 v5, v9
	v_add_nc_u64_e32 v[12:13], s[0:1], v[0:1]
	v_mov_b32_e32 v7, v6
	s_and_b64 s[12:13], s[2:3], 62
	s_delay_alu instid0(SALU_CYCLE_1)
	s_mov_b64 s[14:15], s[12:13]
.LBB1_41:                               ; =>This Inner Loop Header: Depth=1
	ds_load_2addr_b32 v[20:21], v19 offset0:1 offset1:2
	s_wait_dscnt 0x1
	v_pk_fma_f32 v[22:23], v[14:15], v[10:11], 0 op_sel_hi:[1,1,0]
	ds_load_2addr_b32 v[10:11], v19 offset0:2 offset1:3
	s_add_nc_u64 s[14:15], s[14:15], -2
	v_add_nc_u32_e32 v19, 8, v19
	s_cmp_lg_u64 s[14:15], 0
	s_wait_dscnt 0x1
	v_pk_fma_f32 v[20:21], v[16:17], v[20:21], v[22:23]
	s_wait_dscnt 0x0
	s_delay_alu instid0(VALU_DEP_1) | instskip(NEXT) | instid1(VALU_DEP_1)
	v_pk_fma_f32 v[20:21], v[4:5], v[10:11], v[20:21]
	v_pk_add_f32 v[20:21], v[6:7], v[20:21]
	s_delay_alu instid0(VALU_DEP_1) | instskip(NEXT) | instid1(VALU_DEP_2)
	v_mul_f32_e32 v1, 0xbfb8aa3b, v21
	v_mul_f32_e32 v3, 0xbfb8aa3b, v20
	v_cmp_nlt_f32_e32 vcc_lo, 0x42ce8ed0, v20
	v_cmp_nlt_f32_e64 s0, 0x42ce8ed0, v21
	s_delay_alu instid0(VALU_DEP_4) | instskip(SKIP_3) | instid1(VALU_DEP_3)
	v_fma_f32 v22, 0xbfb8aa3b, v21, -v1
	v_rndne_f32_e32 v23, v1
	v_fma_f32 v24, 0xbfb8aa3b, v20, -v3
	v_rndne_f32_e32 v25, v3
	v_dual_fmac_f32 v22, 0xb2a5705f, v21 :: v_dual_sub_f32 v1, v1, v23
	s_delay_alu instid0(VALU_DEP_2) | instskip(NEXT) | instid1(VALU_DEP_2)
	v_dual_fmac_f32 v24, 0xb2a5705f, v20 :: v_dual_sub_f32 v3, v3, v25
	v_add_f32_e32 v1, v1, v22
	v_cvt_i32_f32_e32 v22, v23
	s_delay_alu instid0(VALU_DEP_3) | instskip(SKIP_1) | instid1(VALU_DEP_4)
	v_add_f32_e32 v3, v3, v24
	v_cvt_i32_f32_e32 v23, v25
	v_exp_f32_e32 v1, v1
	s_delay_alu instid0(VALU_DEP_2) | instskip(NEXT) | instid1(TRANS32_DEP_2)
	v_exp_f32_e32 v3, v3
	v_ldexp_f32 v1, v1, v22
	s_delay_alu instid0(TRANS32_DEP_1) | instskip(NEXT) | instid1(VALU_DEP_2)
	v_ldexp_f32 v3, v3, v23
	v_cndmask_b32_e64 v1, 0, v1, s0
	v_cmp_ngt_f32_e64 s0, 0xc2b17218, v21
	s_delay_alu instid0(VALU_DEP_3) | instskip(SKIP_1) | instid1(VALU_DEP_3)
	v_cndmask_b32_e32 v3, 0, v3, vcc_lo
	v_cmp_ngt_f32_e32 vcc_lo, 0xc2b17218, v20
	v_cndmask_b32_e64 v23, 0x7f800000, v1, s0
	s_delay_alu instid0(VALU_DEP_3) | instskip(NEXT) | instid1(VALU_DEP_1)
	v_cndmask_b32_e32 v22, 0x7f800000, v3, vcc_lo
	v_pk_add_f32 v[22:23], v[22:23], 1.0 op_sel_hi:[1,0]
	s_delay_alu instid0(VALU_DEP_1) | instskip(NEXT) | instid1(VALU_DEP_2)
	v_div_scale_f32 v1, null, v23, v23, v21
	v_div_scale_f32 v3, null, v22, v22, v20
	v_div_scale_f32 v24, vcc_lo, v21, v23, v21
	s_delay_alu instid0(VALU_DEP_3) | instskip(NEXT) | instid1(VALU_DEP_2)
	v_rcp_f32_e32 v25, v1
	v_rcp_f32_e32 v26, v3
	v_div_scale_f32 v27, s0, v20, v22, v20
	s_delay_alu instid0(TRANS32_DEP_2) | instskip(NEXT) | instid1(TRANS32_DEP_1)
	v_fma_f32 v28, -v1, v25, 1.0
	v_fma_f32 v29, -v3, v26, 1.0
	s_delay_alu instid0(VALU_DEP_1) | instskip(NEXT) | instid1(VALU_DEP_1)
	v_dual_fmac_f32 v25, v28, v25 :: v_dual_fmac_f32 v26, v29, v26
	v_dual_mul_f32 v28, v24, v25 :: v_dual_mul_f32 v29, v27, v26
	s_delay_alu instid0(VALU_DEP_1) | instskip(NEXT) | instid1(VALU_DEP_1)
	v_fma_f32 v30, -v1, v28, v24
	v_fmac_f32_e32 v28, v30, v25
	s_delay_alu instid0(VALU_DEP_1) | instskip(NEXT) | instid1(VALU_DEP_1)
	v_dual_fma_f32 v31, -v3, v29, v27 :: v_dual_fma_f32 v1, -v1, v28, v24
	v_fmac_f32_e32 v29, v31, v26
	s_delay_alu instid0(VALU_DEP_2) | instskip(NEXT) | instid1(VALU_DEP_2)
	v_div_fmas_f32 v1, v1, v25, v28
	v_fma_f32 v3, -v3, v29, v27
	s_mov_b32 vcc_lo, s0
	s_delay_alu instid0(VALU_DEP_2) | instskip(NEXT) | instid1(VALU_DEP_2)
	v_div_fixup_f32 v21, v1, v23, v21
	v_div_fmas_f32 v3, v3, v26, v29
	s_delay_alu instid0(VALU_DEP_1)
	v_div_fixup_f32 v20, v3, v22, v20
	global_store_b64 v[12:13], v[20:21], off
	s_wait_xcnt 0x0
	v_add_nc_u64_e32 v[12:13], 8, v[12:13]
	s_cbranch_scc1 .LBB1_41
; %bb.42:
	s_cmp_lg_u64 s[2:3], s[12:13]
	s_cselect_b32 s0, -1, 0
	s_delay_alu instid0(SALU_CYCLE_1)
	s_and_b32 vcc_lo, exec_lo, s0
	s_cbranch_vccnz .LBB1_44
	s_branch .LBB1_46
.LBB1_43:
	s_mov_b64 s[12:13], 0
	s_cbranch_execz .LBB1_46
.LBB1_44:
	s_lshl_b32 s0, s12, 2
	s_ashr_i32 s5, s4, 31
	v_add3_u32 v3, 0, s0, v18
	s_mul_u64 s[0:1], s[12:13], s[4:5]
	s_add_nc_u64 s[6:7], s[8:9], s[6:7]
	s_lshl_b64 s[0:1], s[0:1], 2
	v_mov_b32_e32 v1, 0
	ds_load_b32 v4, v3
	s_add_nc_u64 s[0:1], s[6:7], s[0:1]
	s_delay_alu instid0(SALU_CYCLE_1) | instskip(NEXT) | instid1(SALU_CYCLE_1)
	s_add_nc_u64 s[0:1], s[10:11], s[0:1]
	v_add_nc_u64_e32 v[0:1], s[0:1], v[0:1]
	s_sub_nc_u64 s[0:1], s[2:3], s[12:13]
	s_lshl_b64 s[2:3], s[4:5], 2
.LBB1_45:                               ; =>This Inner Loop Header: Depth=1
	s_wait_dscnt 0x0
	v_fma_f32 v7, v2, v4, 0
	ds_load_2addr_b32 v[4:5], v3 offset0:1 offset1:2
	s_add_nc_u64 s[0:1], s[0:1], -1
	v_add_nc_u32_e32 v3, 4, v3
	s_cmp_lg_u64 s[0:1], 0
	s_wait_dscnt 0x0
	v_pk_mul_f32 v[10:11], v[8:9], v[4:5]
	s_delay_alu instid0(VALU_DEP_1) | instskip(NEXT) | instid1(VALU_DEP_1)
	v_add_f32_e32 v5, v7, v10
	v_add_f32_e32 v5, v5, v11
	s_delay_alu instid0(VALU_DEP_1) | instskip(NEXT) | instid1(VALU_DEP_1)
	v_add_f32_e32 v5, v6, v5
	v_mul_f32_e32 v7, 0xbfb8aa3b, v5
	v_cmp_nlt_f32_e32 vcc_lo, 0x42ce8ed0, v5
	s_delay_alu instid0(VALU_DEP_2) | instskip(SKIP_1) | instid1(VALU_DEP_1)
	v_fma_f32 v10, 0xbfb8aa3b, v5, -v7
	v_rndne_f32_e32 v11, v7
	v_dual_fmac_f32 v10, 0xb2a5705f, v5 :: v_dual_sub_f32 v7, v7, v11
	s_delay_alu instid0(VALU_DEP_1) | instskip(SKIP_1) | instid1(VALU_DEP_2)
	v_add_f32_e32 v7, v7, v10
	v_cvt_i32_f32_e32 v10, v11
	v_exp_f32_e32 v7, v7
	v_nop
	s_delay_alu instid0(TRANS32_DEP_1) | instskip(NEXT) | instid1(VALU_DEP_1)
	v_ldexp_f32 v7, v7, v10
	v_cndmask_b32_e32 v7, 0, v7, vcc_lo
	v_cmp_ngt_f32_e32 vcc_lo, 0xc2b17218, v5
	s_delay_alu instid0(VALU_DEP_2) | instskip(NEXT) | instid1(VALU_DEP_1)
	v_cndmask_b32_e32 v7, 0x7f800000, v7, vcc_lo
	v_add_f32_e32 v7, 1.0, v7
	s_delay_alu instid0(VALU_DEP_1) | instskip(SKIP_1) | instid1(VALU_DEP_2)
	v_div_scale_f32 v10, null, v7, v7, v5
	v_div_scale_f32 v13, vcc_lo, v5, v7, v5
	v_rcp_f32_e32 v11, v10
	v_nop
	s_delay_alu instid0(TRANS32_DEP_1) | instskip(NEXT) | instid1(VALU_DEP_1)
	v_fma_f32 v12, -v10, v11, 1.0
	v_fmac_f32_e32 v11, v12, v11
	s_delay_alu instid0(VALU_DEP_1) | instskip(NEXT) | instid1(VALU_DEP_1)
	v_mul_f32_e32 v12, v13, v11
	v_fma_f32 v14, -v10, v12, v13
	s_delay_alu instid0(VALU_DEP_1) | instskip(NEXT) | instid1(VALU_DEP_1)
	v_fmac_f32_e32 v12, v14, v11
	v_fma_f32 v10, -v10, v12, v13
	s_delay_alu instid0(VALU_DEP_1) | instskip(NEXT) | instid1(VALU_DEP_1)
	v_div_fmas_f32 v10, v10, v11, v12
	v_div_fixup_f32 v5, v10, v7, v5
	global_store_b32 v[0:1], v5, off
	s_wait_xcnt 0x0
	v_add_nc_u64_e32 v[0:1], s[2:3], v[0:1]
	s_cbranch_scc1 .LBB1_45
.LBB1_46:
	s_endpgm
	.section	.rodata,"a",@progbits
	.p2align	6, 0x0
	.amdhsa_kernel _ZL23ssm_conv_long_token_f32ILb1ELm128ELm3ELl32EEvPKfS1_S1_iiiiPfiiil
		.amdhsa_group_segment_fixed_size 0
		.amdhsa_private_segment_fixed_size 0
		.amdhsa_kernarg_size 72
		.amdhsa_user_sgpr_count 2
		.amdhsa_user_sgpr_dispatch_ptr 0
		.amdhsa_user_sgpr_queue_ptr 0
		.amdhsa_user_sgpr_kernarg_segment_ptr 1
		.amdhsa_user_sgpr_dispatch_id 0
		.amdhsa_user_sgpr_kernarg_preload_length 0
		.amdhsa_user_sgpr_kernarg_preload_offset 0
		.amdhsa_user_sgpr_private_segment_size 0
		.amdhsa_wavefront_size32 1
		.amdhsa_uses_dynamic_stack 0
		.amdhsa_enable_private_segment 0
		.amdhsa_system_sgpr_workgroup_id_x 1
		.amdhsa_system_sgpr_workgroup_id_y 1
		.amdhsa_system_sgpr_workgroup_id_z 1
		.amdhsa_system_sgpr_workgroup_info 0
		.amdhsa_system_vgpr_workitem_id 0
		.amdhsa_next_free_vgpr 64
		.amdhsa_next_free_sgpr 20
		.amdhsa_named_barrier_count 0
		.amdhsa_reserve_vcc 1
		.amdhsa_float_round_mode_32 0
		.amdhsa_float_round_mode_16_64 0
		.amdhsa_float_denorm_mode_32 3
		.amdhsa_float_denorm_mode_16_64 3
		.amdhsa_fp16_overflow 0
		.amdhsa_memory_ordered 1
		.amdhsa_forward_progress 1
		.amdhsa_inst_pref_size 51
		.amdhsa_round_robin_scheduling 0
		.amdhsa_exception_fp_ieee_invalid_op 0
		.amdhsa_exception_fp_denorm_src 0
		.amdhsa_exception_fp_ieee_div_zero 0
		.amdhsa_exception_fp_ieee_overflow 0
		.amdhsa_exception_fp_ieee_underflow 0
		.amdhsa_exception_fp_ieee_inexact 0
		.amdhsa_exception_int_div_zero 0
	.end_amdhsa_kernel
	.section	.text._ZL23ssm_conv_long_token_f32ILb1ELm128ELm3ELl32EEvPKfS1_S1_iiiiPfiiil,"axG",@progbits,_ZL23ssm_conv_long_token_f32ILb1ELm128ELm3ELl32EEvPKfS1_S1_iiiiPfiiil,comdat
.Lfunc_end1:
	.size	_ZL23ssm_conv_long_token_f32ILb1ELm128ELm3ELl32EEvPKfS1_S1_iiiiPfiiil, .Lfunc_end1-_ZL23ssm_conv_long_token_f32ILb1ELm128ELm3ELl32EEvPKfS1_S1_iiiiPfiiil
                                        ; -- End function
	.set _ZL23ssm_conv_long_token_f32ILb1ELm128ELm3ELl32EEvPKfS1_S1_iiiiPfiiil.num_vgpr, 64
	.set _ZL23ssm_conv_long_token_f32ILb1ELm128ELm3ELl32EEvPKfS1_S1_iiiiPfiiil.num_agpr, 0
	.set _ZL23ssm_conv_long_token_f32ILb1ELm128ELm3ELl32EEvPKfS1_S1_iiiiPfiiil.numbered_sgpr, 20
	.set _ZL23ssm_conv_long_token_f32ILb1ELm128ELm3ELl32EEvPKfS1_S1_iiiiPfiiil.num_named_barrier, 0
	.set _ZL23ssm_conv_long_token_f32ILb1ELm128ELm3ELl32EEvPKfS1_S1_iiiiPfiiil.private_seg_size, 0
	.set _ZL23ssm_conv_long_token_f32ILb1ELm128ELm3ELl32EEvPKfS1_S1_iiiiPfiiil.uses_vcc, 1
	.set _ZL23ssm_conv_long_token_f32ILb1ELm128ELm3ELl32EEvPKfS1_S1_iiiiPfiiil.uses_flat_scratch, 0
	.set _ZL23ssm_conv_long_token_f32ILb1ELm128ELm3ELl32EEvPKfS1_S1_iiiiPfiiil.has_dyn_sized_stack, 0
	.set _ZL23ssm_conv_long_token_f32ILb1ELm128ELm3ELl32EEvPKfS1_S1_iiiiPfiiil.has_recursion, 0
	.set _ZL23ssm_conv_long_token_f32ILb1ELm128ELm3ELl32EEvPKfS1_S1_iiiiPfiiil.has_indirect_call, 0
	.section	.AMDGPU.csdata,"",@progbits
; Kernel info:
; codeLenInByte = 6484
; TotalNumSgprs: 22
; NumVgprs: 64
; ScratchSize: 0
; MemoryBound: 0
; FloatMode: 240
; IeeeMode: 1
; LDSByteSize: 0 bytes/workgroup (compile time only)
; SGPRBlocks: 0
; VGPRBlocks: 3
; NumSGPRsForWavesPerEU: 22
; NumVGPRsForWavesPerEU: 64
; NamedBarCnt: 0
; Occupancy: 16
; WaveLimiterHint : 0
; COMPUTE_PGM_RSRC2:SCRATCH_EN: 0
; COMPUTE_PGM_RSRC2:USER_SGPR: 2
; COMPUTE_PGM_RSRC2:TRAP_HANDLER: 0
; COMPUTE_PGM_RSRC2:TGID_X_EN: 1
; COMPUTE_PGM_RSRC2:TGID_Y_EN: 1
; COMPUTE_PGM_RSRC2:TGID_Z_EN: 1
; COMPUTE_PGM_RSRC2:TIDIG_COMP_CNT: 0
	.section	.text._ZL12ssm_conv_f32ILb1ELm128ELm4EEvPKfS1_S1_iiiiPfiiil,"axG",@progbits,_ZL12ssm_conv_f32ILb1ELm128ELm4EEvPKfS1_S1_iiiiPfiiil,comdat
	.globl	_ZL12ssm_conv_f32ILb1ELm128ELm4EEvPKfS1_S1_iiiiPfiiil ; -- Begin function _ZL12ssm_conv_f32ILb1ELm128ELm4EEvPKfS1_S1_iiiiPfiiil
	.p2align	8
	.type	_ZL12ssm_conv_f32ILb1ELm128ELm4EEvPKfS1_S1_iiiiPfiiil,@function
_ZL12ssm_conv_f32ILb1ELm128ELm4EEvPKfS1_S1_iiiiPfiiil: ; @_ZL12ssm_conv_f32ILb1ELm128ELm4EEvPKfS1_S1_iiiiPfiiil
; %bb.0:
	s_load_b64 s[2:3], s[0:1], 0x10
	s_bfe_u32 s4, ttmp6, 0x40010
	s_bfe_u32 s5, ttmp6, 0x40004
	s_add_co_i32 s4, s4, 1
	s_getreg_b32 s7, hwreg(HW_REG_IB_STS2, 6, 4)
	s_mul_i32 s4, ttmp7, s4
	s_delay_alu instid0(SALU_CYCLE_1) | instskip(SKIP_2) | instid1(SALU_CYCLE_1)
	s_add_co_i32 s5, s5, s4
	s_cmp_eq_u32 s7, 0
	s_cselect_b32 s4, ttmp7, s5
	s_ashr_i32 s5, s4, 31
	s_delay_alu instid0(SALU_CYCLE_1)
	s_lshl_b64 s[8:9], s[4:5], 7
	s_wait_kmcnt 0x0
	s_cmp_eq_u64 s[2:3], 0
	s_cbranch_scc1 .LBB2_2
; %bb.1:
	s_lshl_b64 s[4:5], s[8:9], 2
	s_delay_alu instid0(SALU_CYCLE_1)
	s_add_nc_u64 s[2:3], s[2:3], s[4:5]
	global_load_b32 v12, v0, s[2:3] scale_offset
	s_wait_xcnt 0x0
	s_load_b64 s[2:3], s[0:1], 0x40
	s_wait_kmcnt 0x0
	v_cmp_lt_i64_e64 s4, s[2:3], 1
	s_and_b32 vcc_lo, exec_lo, s4
	s_cbranch_vccz .LBB2_3
	s_branch .LBB2_6
.LBB2_2:
	v_mov_b32_e32 v12, 0
	s_load_b64 s[2:3], s[0:1], 0x40
	s_wait_kmcnt 0x0
	v_cmp_lt_i64_e64 s4, s[2:3], 1
	s_and_b32 vcc_lo, exec_lo, s4
	s_cbranch_vccnz .LBB2_6
.LBB2_3:
	s_clause 0x1
	s_load_b96 s[4:6], s[0:1], 0x1c
	s_load_b128 s[12:15], s[0:1], 0x0
	s_bfe_u32 s10, ttmp6, 0x4000c
	s_and_b32 s11, ttmp6, 15
	s_add_co_i32 s10, s10, 1
	s_delay_alu instid0(SALU_CYCLE_1) | instskip(NEXT) | instid1(SALU_CYCLE_1)
	s_mul_i32 s10, ttmp9, s10
	s_add_co_i32 s10, s11, s10
	s_wait_kmcnt 0x0
	s_ashr_i32 s11, s6, 31
	s_ashr_i32 s16, s6, 2
	s_cmp_eq_u32 s7, 0
	v_mul_lo_u32 v2, s16, v0
	s_cselect_b32 s17, ttmp9, s10
	s_ashr_i32 s7, s4, 2
	s_mov_b32 s10, s6
	v_mul_lo_u32 v4, s7, v0
	s_mul_u64 s[6:7], s[8:9], s[10:11]
	s_mul_i32 s10, s5, s17
	s_ashr_i32 s5, s4, 31
	s_ashr_i32 s11, s10, 31
	s_mul_u64 s[4:5], s[8:9], s[4:5]
	s_add_nc_u64 s[10:11], s[12:13], s[10:11]
	v_ashrrev_i32_e32 v3, 31, v2
	s_add_nc_u64 s[6:7], s[14:15], s[6:7]
	s_add_nc_u64 s[4:5], s[10:11], s[4:5]
	s_delay_alu instid0(VALU_DEP_2) | instskip(NEXT) | instid1(VALU_DEP_2)
	v_ashrrev_i32_e32 v5, 31, v4
	v_lshl_add_u64 v[14:15], v[2:3], 2, s[6:7]
	s_delay_alu instid0(VALU_DEP_2)
	v_lshl_add_u64 v[10:11], v[4:5], 2, s[4:5]
	s_load_b96 s[4:6], s[0:1], 0x30
	global_load_b128 v[2:5], v[14:15], off
	global_load_b128 v[6:9], v[10:11], off
	s_load_b64 s[0:1], s[0:1], 0x28
	s_wait_kmcnt 0x0
	s_mul_i32 s6, s6, s17
	s_ashr_i32 s11, s4, 31
	s_ashr_i32 s7, s6, 31
	s_mov_b32 s10, s4
	s_add_nc_u64 s[0:1], s[0:1], s[6:7]
	s_mul_u64 s[6:7], s[8:9], s[10:11]
	s_cmp_eq_u64 s[2:3], 1
	s_add_nc_u64 s[8:9], s[0:1], s[6:7]
	s_wait_loadcnt 0x0
	v_pk_mul_f32 v[14:15], v[2:3], v[6:7]
	v_pk_mul_f32 v[16:17], v[4:5], v[8:9]
	s_delay_alu instid0(VALU_DEP_2) | instskip(NEXT) | instid1(VALU_DEP_1)
	v_add_f32_e32 v1, 0, v14
	v_add_f32_e32 v1, v1, v15
	s_delay_alu instid0(VALU_DEP_1) | instskip(NEXT) | instid1(VALU_DEP_1)
	v_add_f32_e32 v1, v1, v16
	v_add_f32_e32 v1, v1, v17
	s_delay_alu instid0(VALU_DEP_1) | instskip(NEXT) | instid1(VALU_DEP_1)
	v_add_f32_e32 v1, v12, v1
	v_mul_f32_e32 v13, 0xbfb8aa3b, v1
	s_delay_alu instid0(VALU_DEP_1) | instskip(SKIP_1) | instid1(VALU_DEP_1)
	v_fma_f32 v14, 0xbfb8aa3b, v1, -v13
	v_rndne_f32_e32 v15, v13
	v_dual_fmac_f32 v14, 0xb2a5705f, v1 :: v_dual_sub_f32 v13, v13, v15
	s_delay_alu instid0(VALU_DEP_1) | instskip(SKIP_2) | instid1(VALU_DEP_3)
	v_add_f32_e32 v13, v13, v14
	v_cvt_i32_f32_e32 v14, v15
	v_cmp_nlt_f32_e32 vcc_lo, 0x42ce8ed0, v1
	v_exp_f32_e32 v13, v13
	v_nop
	s_delay_alu instid0(TRANS32_DEP_1) | instskip(NEXT) | instid1(VALU_DEP_1)
	v_ldexp_f32 v13, v13, v14
	v_cndmask_b32_e32 v13, 0, v13, vcc_lo
	v_cmp_ngt_f32_e32 vcc_lo, 0xc2b17218, v1
	s_delay_alu instid0(VALU_DEP_2) | instskip(NEXT) | instid1(VALU_DEP_1)
	v_cndmask_b32_e32 v13, 0x7f800000, v13, vcc_lo
	v_add_f32_e32 v13, 1.0, v13
	s_delay_alu instid0(VALU_DEP_1) | instskip(NEXT) | instid1(VALU_DEP_1)
	v_div_scale_f32 v14, null, v13, v13, v1
	v_rcp_f32_e32 v15, v14
	v_nop
	s_delay_alu instid0(TRANS32_DEP_1) | instskip(NEXT) | instid1(VALU_DEP_1)
	v_fma_f32 v16, -v14, v15, 1.0
	v_fmac_f32_e32 v15, v16, v15
	v_div_scale_f32 v16, vcc_lo, v1, v13, v1
	s_delay_alu instid0(VALU_DEP_1) | instskip(NEXT) | instid1(VALU_DEP_1)
	v_mul_f32_e32 v17, v16, v15
	v_fma_f32 v18, -v14, v17, v16
	s_delay_alu instid0(VALU_DEP_1) | instskip(NEXT) | instid1(VALU_DEP_1)
	v_fmac_f32_e32 v17, v18, v15
	v_fma_f32 v14, -v14, v17, v16
	s_delay_alu instid0(VALU_DEP_1) | instskip(NEXT) | instid1(VALU_DEP_1)
	v_div_fmas_f32 v14, v14, v15, v17
	v_div_fixup_f32 v1, v14, v13, v1
	global_store_b32 v0, v1, s[8:9] scale_offset
	s_cbranch_scc1 .LBB2_6
; %bb.4:
	s_ashr_i32 s4, s5, 2
	v_dual_mov_b32 v15, 0 :: v_dual_lshlrev_b32 v14, 2, v0
	s_ashr_i32 s5, s4, 31
	s_wait_xcnt 0x0
	v_add_nc_u64_e32 v[0:1], 16, v[10:11]
	s_lshl_b64 s[4:5], s[4:5], 2
	s_mov_b64 s[10:11], 0
	s_add_nc_u64 s[6:7], s[6:7], s[4:5]
	s_delay_alu instid0(SALU_CYCLE_1)
	s_add_nc_u64 s[0:1], s[0:1], s[6:7]
	s_add_nc_u64 s[6:7], s[2:3], -1
	v_add_nc_u64_e32 v[10:11], s[0:1], v[14:15]
.LBB2_5:                                ; =>This Inner Loop Header: Depth=1
	global_load_b32 v15, v[0:1], off
	s_add_co_i32 s0, s10, 4
	s_add_nc_u64 s[8:9], s[10:11], 1
	s_and_b32 s2, s0, 3
	s_wait_xcnt 0x0
	v_add_nc_u64_e32 v[0:1], 4, v[0:1]
	s_cmp_eq_u32 s2, 3
	s_cselect_b32 vcc_lo, -1, 0
	s_cmp_eq_u32 s2, 2
	s_cselect_b32 s0, -1, 0
	s_cmp_eq_u32 s2, 1
	s_cselect_b32 s1, -1, 0
	s_cmp_eq_u32 s2, 0
	s_cselect_b32 s2, -1, 0
	s_and_b32 s3, s8, 3
	s_delay_alu instid0(SALU_CYCLE_1)
	s_cmp_eq_u32 s3, 1
	s_wait_loadcnt 0x0
	v_dual_cndmask_b32 v7, v7, v15, s1 :: v_dual_cndmask_b32 v6, v6, v15, s2
	v_dual_cndmask_b32 v9, v9, v15, vcc_lo :: v_dual_cndmask_b32 v8, v8, v15, s0
	s_cselect_b32 vcc_lo, -1, 0
	s_cmp_eq_u32 s3, 2
	s_delay_alu instid0(VALU_DEP_2) | instskip(SKIP_2) | instid1(VALU_DEP_1)
	v_cndmask_b32_e32 v13, v6, v7, vcc_lo
	s_cselect_b32 vcc_lo, -1, 0
	s_cmp_eq_u32 s3, 3
	v_cndmask_b32_e32 v13, v13, v8, vcc_lo
	s_cselect_b32 vcc_lo, -1, 0
	s_add_co_i32 s0, s10, 2
	s_mov_b64 s[10:11], s[8:9]
	s_and_b32 s0, s0, 3
	v_cndmask_b32_e32 v16, v13, v9, vcc_lo
	s_cmp_eq_u32 s0, 1
	s_cselect_b32 vcc_lo, -1, 0
	s_cmp_eq_u32 s0, 2
	v_cndmask_b32_e32 v13, v6, v7, vcc_lo
	s_cselect_b32 vcc_lo, -1, 0
	s_cmp_eq_u32 s0, 3
	s_delay_alu instid0(VALU_DEP_1) | instskip(SKIP_2) | instid1(SALU_CYCLE_1)
	v_cndmask_b32_e32 v13, v13, v8, vcc_lo
	s_cselect_b32 vcc_lo, -1, 0
	s_xor_b32 s1, s3, 2
	s_cmp_eq_u32 s1, 1
	s_cselect_b32 s0, -1, 0
	s_cmp_eq_u32 s1, 2
	v_dual_cndmask_b32 v14, v6, v7, s0 :: v_dual_cndmask_b32 v17, v13, v9, vcc_lo
	s_cselect_b32 vcc_lo, -1, 0
	s_cmp_eq_u32 s1, 3
	s_delay_alu instid0(VALU_DEP_1) | instskip(NEXT) | instid1(VALU_DEP_2)
	v_cndmask_b32_e32 v13, v14, v8, vcc_lo
	v_pk_mul_f32 v[16:17], v[2:3], v[16:17]
	s_cselect_b32 vcc_lo, -1, 0
	s_cmp_eq_u64 s[6:7], s[8:9]
	s_delay_alu instid0(VALU_DEP_1) | instskip(NEXT) | instid1(VALU_DEP_1)
	v_dual_cndmask_b32 v14, v13, v9 :: v_dual_add_f32 v13, 0, v16
	v_pk_mul_f32 v[14:15], v[4:5], v[14:15]
	s_delay_alu instid0(VALU_DEP_2) | instskip(NEXT) | instid1(VALU_DEP_1)
	v_add_f32_e32 v13, v13, v17
	v_add_f32_e32 v13, v13, v14
	s_delay_alu instid0(VALU_DEP_1) | instskip(NEXT) | instid1(VALU_DEP_1)
	v_add_f32_e32 v13, v13, v15
	v_add_f32_e32 v13, v12, v13
	s_delay_alu instid0(VALU_DEP_1) | instskip(SKIP_1) | instid1(VALU_DEP_2)
	v_mul_f32_e32 v14, 0xbfb8aa3b, v13
	v_cmp_nlt_f32_e32 vcc_lo, 0x42ce8ed0, v13
	v_fma_f32 v15, 0xbfb8aa3b, v13, -v14
	v_rndne_f32_e32 v16, v14
	s_delay_alu instid0(VALU_DEP_1) | instskip(NEXT) | instid1(VALU_DEP_1)
	v_dual_fmac_f32 v15, 0xb2a5705f, v13 :: v_dual_sub_f32 v14, v14, v16
	v_add_f32_e32 v14, v14, v15
	v_cvt_i32_f32_e32 v15, v16
	s_delay_alu instid0(VALU_DEP_2) | instskip(SKIP_1) | instid1(TRANS32_DEP_1)
	v_exp_f32_e32 v14, v14
	v_nop
	v_ldexp_f32 v14, v14, v15
	s_delay_alu instid0(VALU_DEP_1) | instskip(SKIP_1) | instid1(VALU_DEP_2)
	v_cndmask_b32_e32 v14, 0, v14, vcc_lo
	v_cmp_ngt_f32_e32 vcc_lo, 0xc2b17218, v13
	v_cndmask_b32_e32 v14, 0x7f800000, v14, vcc_lo
	s_delay_alu instid0(VALU_DEP_1) | instskip(NEXT) | instid1(VALU_DEP_1)
	v_add_f32_e32 v14, 1.0, v14
	v_div_scale_f32 v15, null, v14, v14, v13
	s_delay_alu instid0(VALU_DEP_1) | instskip(SKIP_1) | instid1(TRANS32_DEP_1)
	v_rcp_f32_e32 v16, v15
	v_nop
	v_fma_f32 v17, -v15, v16, 1.0
	s_delay_alu instid0(VALU_DEP_1) | instskip(SKIP_1) | instid1(VALU_DEP_1)
	v_fmac_f32_e32 v16, v17, v16
	v_div_scale_f32 v18, vcc_lo, v13, v14, v13
	v_mul_f32_e32 v17, v18, v16
	s_delay_alu instid0(VALU_DEP_1) | instskip(NEXT) | instid1(VALU_DEP_1)
	v_fma_f32 v19, -v15, v17, v18
	v_fmac_f32_e32 v17, v19, v16
	s_delay_alu instid0(VALU_DEP_1) | instskip(NEXT) | instid1(VALU_DEP_1)
	v_fma_f32 v15, -v15, v17, v18
	v_div_fmas_f32 v15, v15, v16, v17
	s_delay_alu instid0(VALU_DEP_1)
	v_div_fixup_f32 v13, v15, v14, v13
	global_store_b32 v[10:11], v13, off
	s_wait_xcnt 0x0
	v_add_nc_u64_e32 v[10:11], s[4:5], v[10:11]
	s_cbranch_scc0 .LBB2_5
.LBB2_6:
	s_endpgm
	.section	.rodata,"a",@progbits
	.p2align	6, 0x0
	.amdhsa_kernel _ZL12ssm_conv_f32ILb1ELm128ELm4EEvPKfS1_S1_iiiiPfiiil
		.amdhsa_group_segment_fixed_size 0
		.amdhsa_private_segment_fixed_size 0
		.amdhsa_kernarg_size 72
		.amdhsa_user_sgpr_count 2
		.amdhsa_user_sgpr_dispatch_ptr 0
		.amdhsa_user_sgpr_queue_ptr 0
		.amdhsa_user_sgpr_kernarg_segment_ptr 1
		.amdhsa_user_sgpr_dispatch_id 0
		.amdhsa_user_sgpr_kernarg_preload_length 0
		.amdhsa_user_sgpr_kernarg_preload_offset 0
		.amdhsa_user_sgpr_private_segment_size 0
		.amdhsa_wavefront_size32 1
		.amdhsa_uses_dynamic_stack 0
		.amdhsa_enable_private_segment 0
		.amdhsa_system_sgpr_workgroup_id_x 1
		.amdhsa_system_sgpr_workgroup_id_y 1
		.amdhsa_system_sgpr_workgroup_id_z 0
		.amdhsa_system_sgpr_workgroup_info 0
		.amdhsa_system_vgpr_workitem_id 0
		.amdhsa_next_free_vgpr 20
		.amdhsa_next_free_sgpr 18
		.amdhsa_named_barrier_count 0
		.amdhsa_reserve_vcc 1
		.amdhsa_float_round_mode_32 0
		.amdhsa_float_round_mode_16_64 0
		.amdhsa_float_denorm_mode_32 3
		.amdhsa_float_denorm_mode_16_64 3
		.amdhsa_fp16_overflow 0
		.amdhsa_memory_ordered 1
		.amdhsa_forward_progress 1
		.amdhsa_inst_pref_size 10
		.amdhsa_round_robin_scheduling 0
		.amdhsa_exception_fp_ieee_invalid_op 0
		.amdhsa_exception_fp_denorm_src 0
		.amdhsa_exception_fp_ieee_div_zero 0
		.amdhsa_exception_fp_ieee_overflow 0
		.amdhsa_exception_fp_ieee_underflow 0
		.amdhsa_exception_fp_ieee_inexact 0
		.amdhsa_exception_int_div_zero 0
	.end_amdhsa_kernel
	.section	.text._ZL12ssm_conv_f32ILb1ELm128ELm4EEvPKfS1_S1_iiiiPfiiil,"axG",@progbits,_ZL12ssm_conv_f32ILb1ELm128ELm4EEvPKfS1_S1_iiiiPfiiil,comdat
.Lfunc_end2:
	.size	_ZL12ssm_conv_f32ILb1ELm128ELm4EEvPKfS1_S1_iiiiPfiiil, .Lfunc_end2-_ZL12ssm_conv_f32ILb1ELm128ELm4EEvPKfS1_S1_iiiiPfiiil
                                        ; -- End function
	.set _ZL12ssm_conv_f32ILb1ELm128ELm4EEvPKfS1_S1_iiiiPfiiil.num_vgpr, 20
	.set _ZL12ssm_conv_f32ILb1ELm128ELm4EEvPKfS1_S1_iiiiPfiiil.num_agpr, 0
	.set _ZL12ssm_conv_f32ILb1ELm128ELm4EEvPKfS1_S1_iiiiPfiiil.numbered_sgpr, 18
	.set _ZL12ssm_conv_f32ILb1ELm128ELm4EEvPKfS1_S1_iiiiPfiiil.num_named_barrier, 0
	.set _ZL12ssm_conv_f32ILb1ELm128ELm4EEvPKfS1_S1_iiiiPfiiil.private_seg_size, 0
	.set _ZL12ssm_conv_f32ILb1ELm128ELm4EEvPKfS1_S1_iiiiPfiiil.uses_vcc, 1
	.set _ZL12ssm_conv_f32ILb1ELm128ELm4EEvPKfS1_S1_iiiiPfiiil.uses_flat_scratch, 0
	.set _ZL12ssm_conv_f32ILb1ELm128ELm4EEvPKfS1_S1_iiiiPfiiil.has_dyn_sized_stack, 0
	.set _ZL12ssm_conv_f32ILb1ELm128ELm4EEvPKfS1_S1_iiiiPfiiil.has_recursion, 0
	.set _ZL12ssm_conv_f32ILb1ELm128ELm4EEvPKfS1_S1_iiiiPfiiil.has_indirect_call, 0
	.section	.AMDGPU.csdata,"",@progbits
; Kernel info:
; codeLenInByte = 1252
; TotalNumSgprs: 20
; NumVgprs: 20
; ScratchSize: 0
; MemoryBound: 0
; FloatMode: 240
; IeeeMode: 1
; LDSByteSize: 0 bytes/workgroup (compile time only)
; SGPRBlocks: 0
; VGPRBlocks: 1
; NumSGPRsForWavesPerEU: 20
; NumVGPRsForWavesPerEU: 20
; NamedBarCnt: 0
; Occupancy: 16
; WaveLimiterHint : 0
; COMPUTE_PGM_RSRC2:SCRATCH_EN: 0
; COMPUTE_PGM_RSRC2:USER_SGPR: 2
; COMPUTE_PGM_RSRC2:TRAP_HANDLER: 0
; COMPUTE_PGM_RSRC2:TGID_X_EN: 1
; COMPUTE_PGM_RSRC2:TGID_Y_EN: 1
; COMPUTE_PGM_RSRC2:TGID_Z_EN: 0
; COMPUTE_PGM_RSRC2:TIDIG_COMP_CNT: 0
	.section	.text._ZL23ssm_conv_long_token_f32ILb1ELm128ELm4ELl32EEvPKfS1_S1_iiiiPfiiil,"axG",@progbits,_ZL23ssm_conv_long_token_f32ILb1ELm128ELm4ELl32EEvPKfS1_S1_iiiiPfiiil,comdat
	.globl	_ZL23ssm_conv_long_token_f32ILb1ELm128ELm4ELl32EEvPKfS1_S1_iiiiPfiiil ; -- Begin function _ZL23ssm_conv_long_token_f32ILb1ELm128ELm4ELl32EEvPKfS1_S1_iiiiPfiiil
	.p2align	8
	.type	_ZL23ssm_conv_long_token_f32ILb1ELm128ELm4ELl32EEvPKfS1_S1_iiiiPfiiil,@function
_ZL23ssm_conv_long_token_f32ILb1ELm128ELm4ELl32EEvPKfS1_S1_iiiiPfiiil: ; @_ZL23ssm_conv_long_token_f32ILb1ELm128ELm4ELl32EEvPKfS1_S1_iiiiPfiiil
; %bb.0:
	v_mul_u32_u24_e32 v1, 0x751, v0
	s_bfe_u32 s3, ttmp6, 0x40010
	s_and_b32 s2, ttmp7, 0xffff
	s_add_co_i32 s5, s3, 1
	s_bfe_u32 s4, ttmp6, 0x40004
	v_lshrrev_b32_e32 v3, 16, v1
	s_mul_i32 s5, s2, s5
	s_getreg_b32 s8, hwreg(HW_REG_IB_STS2, 6, 4)
	s_add_co_i32 s9, s4, s5
	s_cmp_eq_u32 s8, 0
	v_mul_lo_u16 v1, v3, 35
	s_clause 0x1
	s_load_b64 s[10:11], s[0:1], 0x0
	s_load_b128 s[4:7], s[0:1], 0x18
	s_cselect_b32 s2, s2, s9
	s_bfe_u32 s12, ttmp6, 0x40014
	s_lshr_b32 s9, ttmp7, 16
	v_sub_nc_u16 v16, v0, v1
	s_add_co_i32 s12, s12, 1
	s_bfe_u32 s14, ttmp6, 0x40008
	s_mul_i32 s12, s9, s12
	s_mov_b32 s3, 0
	v_or_b32_e32 v1, 0x80, v16
	s_add_co_i32 s14, s14, s12
	s_cmp_eq_u32 s8, 0
	v_and_b32_e32 v16, 0xffff, v16
	s_cselect_b32 s9, s9, s14
	v_mul_lo_u16 v2, 0xeb, v1
	s_bfe_u32 s12, ttmp6, 0x4000c
	s_and_b32 s15, ttmp6, 15
	s_add_co_i32 s12, s12, 1
	s_mov_b32 s13, s3
	v_lshrrev_b16 v17, 13, v2
	s_mul_i32 s12, ttmp9, s12
	s_wait_kmcnt 0x0
	s_mov_b32 s18, s4
	s_add_co_i32 s15, s15, s12
	s_cmp_eq_u32 s8, 0
	v_mul_lo_u16 v2, v17, 35
	v_and_b32_e32 v17, 0xffff, v17
	s_cselect_b32 s16, ttmp9, s15
	s_ashr_i32 s8, s5, 2
	s_ashr_i32 s19, s4, 31
	v_sub_nc_u16 v1, v1, v2
	s_mul_i32 s4, s6, s16
	s_mov_b32 s14, s5
	s_lshl_b32 s2, s2, 7
	s_ashr_i32 s15, s5, 31
	v_and_b32_e32 v1, 0xff, v1
	s_ashr_i32 s5, s4, 31
	s_lshl_b32 s12, s9, 5
	s_mul_u64 s[14:15], s[2:3], s[14:15]
	s_add_nc_u64 s[4:5], s[10:11], s[4:5]
	v_or_b32_e32 v2, 0x80, v1
	s_mul_u64 s[18:19], s[12:13], s[18:19]
	s_add_nc_u64 s[4:5], s[4:5], s[14:15]
	s_mov_b32 s6, exec_lo
	s_add_nc_u64 s[4:5], s[4:5], s[18:19]
	v_mul_lo_u16 v4, 0xeb, v2
	s_delay_alu instid0(VALU_DEP_1) | instskip(NEXT) | instid1(VALU_DEP_1)
	v_lshrrev_b16 v18, 13, v4
	v_mul_lo_u16 v4, v18, 35
	v_and_b32_e32 v18, 0xffff, v18
	s_delay_alu instid0(VALU_DEP_2) | instskip(NEXT) | instid1(VALU_DEP_1)
	v_sub_nc_u16 v2, v2, v4
	v_and_b32_e32 v2, 0xff, v2
	s_delay_alu instid0(VALU_DEP_1) | instskip(NEXT) | instid1(VALU_DEP_1)
	v_or_b32_e32 v4, 0x80, v2
	v_mul_lo_u16 v5, 0xeb, v4
	s_delay_alu instid0(VALU_DEP_1) | instskip(NEXT) | instid1(VALU_DEP_1)
	v_lshrrev_b16 v19, 13, v5
	v_mul_lo_u16 v5, v19, 35
	v_and_b32_e32 v19, 0xffff, v19
	v_add_nc_u32_e32 v17, v3, v17
	s_delay_alu instid0(VALU_DEP_3) | instskip(NEXT) | instid1(VALU_DEP_2)
	v_sub_nc_u16 v4, v4, v5
	v_add_nc_u32_e32 v18, v17, v18
	v_mad_u32 v37, s8, v3, v16
	v_mul_u32_u24_e32 v3, 0x8c, v3
	s_delay_alu instid0(VALU_DEP_4) | instskip(NEXT) | instid1(VALU_DEP_4)
	v_and_b32_e32 v4, 0xff, v4
	v_dual_lshlrev_b32 v16, 2, v16 :: v_dual_add_nc_u32 v19, v18, v19
	v_mad_u32 v38, v17, s8, v1
	v_mad_u32 v40, v18, s8, v2
	s_delay_alu instid0(VALU_DEP_4)
	v_or_b32_e32 v5, 0x80, v4
	s_clause 0x1
	global_load_b32 v43, v37, s[4:5] scale_offset
	global_load_b32 v44, v38, s[4:5] scale_offset
	v_mul_lo_u16 v6, 0xeb, v5
	v_mad_u32 v41, v19, s8, v4
	v_dual_lshlrev_b32 v2, 2, v2 :: v_dual_lshlrev_b32 v4, 2, v4
	v_add3_u32 v3, 0, v3, v16
	s_delay_alu instid0(VALU_DEP_4) | instskip(SKIP_1) | instid1(VALU_DEP_2)
	v_lshrrev_b16 v20, 13, v6
	v_lshlrev_b32_e32 v1, 2, v1
	v_mul_lo_u16 v6, v20, 35
	v_and_b32_e32 v20, 0xffff, v20
	s_delay_alu instid0(VALU_DEP_2) | instskip(NEXT) | instid1(VALU_DEP_1)
	v_sub_nc_u16 v5, v5, v6
	v_and_b32_e32 v5, 0xff, v5
	s_delay_alu instid0(VALU_DEP_1) | instskip(NEXT) | instid1(VALU_DEP_1)
	v_or_b32_e32 v6, 0x80, v5
	v_mul_lo_u16 v7, 0xeb, v6
	s_delay_alu instid0(VALU_DEP_1) | instskip(NEXT) | instid1(VALU_DEP_1)
	v_lshrrev_b16 v21, 13, v7
	v_mul_lo_u16 v7, v21, 35
	v_and_b32_e32 v21, 0xffff, v21
	s_delay_alu instid0(VALU_DEP_2) | instskip(NEXT) | instid1(VALU_DEP_1)
	v_sub_nc_u16 v6, v6, v7
	v_and_b32_e32 v6, 0xff, v6
	s_delay_alu instid0(VALU_DEP_1) | instskip(NEXT) | instid1(VALU_DEP_1)
	v_or_b32_e32 v7, 0x80, v6
	v_mul_lo_u16 v8, 0xeb, v7
	s_delay_alu instid0(VALU_DEP_1) | instskip(NEXT) | instid1(VALU_DEP_1)
	v_lshrrev_b16 v22, 13, v8
	v_mul_lo_u16 v8, v22, 35
	v_and_b32_e32 v22, 0xffff, v22
	v_add_nc_u32_e32 v20, v19, v20
	s_delay_alu instid0(VALU_DEP_3) | instskip(NEXT) | instid1(VALU_DEP_1)
	v_sub_nc_u16 v7, v7, v8
	v_and_b32_e32 v7, 0xff, v7
	s_delay_alu instid0(VALU_DEP_1) | instskip(NEXT) | instid1(VALU_DEP_1)
	v_or_b32_e32 v8, 0x80, v7
	v_mul_lo_u16 v9, 0xeb, v8
	s_delay_alu instid0(VALU_DEP_1) | instskip(NEXT) | instid1(VALU_DEP_1)
	v_lshrrev_b16 v23, 13, v9
	v_mul_lo_u16 v9, v23, 35
	v_and_b32_e32 v23, 0xffff, v23
	v_add_nc_u32_e32 v21, v20, v21
	s_delay_alu instid0(VALU_DEP_3) | instskip(NEXT) | instid1(VALU_DEP_2)
	v_sub_nc_u16 v8, v8, v9
	v_add_nc_u32_e32 v22, v21, v22
	s_delay_alu instid0(VALU_DEP_2) | instskip(NEXT) | instid1(VALU_DEP_2)
	v_and_b32_e32 v8, 0xff, v8
	v_add_nc_u32_e32 v23, v22, v23
	v_mad_u32 v42, v21, s8, v6
	v_lshlrev_b32_e32 v6, 2, v6
	s_delay_alu instid0(VALU_DEP_4) | instskip(NEXT) | instid1(VALU_DEP_1)
	v_or_b32_e32 v9, 0x80, v8
	v_mul_lo_u16 v10, 0xeb, v9
	s_delay_alu instid0(VALU_DEP_1) | instskip(NEXT) | instid1(VALU_DEP_1)
	v_lshrrev_b16 v24, 13, v10
	v_mul_lo_u16 v10, v24, 35
	v_and_b32_e32 v24, 0xffff, v24
	s_delay_alu instid0(VALU_DEP_2) | instskip(NEXT) | instid1(VALU_DEP_1)
	v_sub_nc_u16 v9, v9, v10
	v_and_b32_e32 v9, 0xff, v9
	s_delay_alu instid0(VALU_DEP_1) | instskip(NEXT) | instid1(VALU_DEP_1)
	v_or_b32_e32 v10, 0x80, v9
	v_mul_lo_u16 v11, 0xeb, v10
	s_delay_alu instid0(VALU_DEP_1) | instskip(NEXT) | instid1(VALU_DEP_1)
	v_lshrrev_b16 v25, 13, v11
	v_mul_lo_u16 v11, v25, 35
	v_and_b32_e32 v25, 0xffff, v25
	s_delay_alu instid0(VALU_DEP_2) | instskip(NEXT) | instid1(VALU_DEP_1)
	v_sub_nc_u16 v10, v10, v11
	v_and_b32_e32 v10, 0xff, v10
	s_delay_alu instid0(VALU_DEP_1) | instskip(NEXT) | instid1(VALU_DEP_1)
	v_or_b32_e32 v11, 0x80, v10
	v_mul_lo_u16 v12, 0xeb, v11
	s_delay_alu instid0(VALU_DEP_1) | instskip(NEXT) | instid1(VALU_DEP_1)
	v_lshrrev_b16 v26, 13, v12
	v_mul_lo_u16 v12, v26, 35
	v_and_b32_e32 v26, 0xffff, v26
	v_add_nc_u32_e32 v24, v23, v24
	s_delay_alu instid0(VALU_DEP_3) | instskip(NEXT) | instid1(VALU_DEP_1)
	v_sub_nc_u16 v11, v11, v12
	v_and_b32_e32 v11, 0xff, v11
	s_delay_alu instid0(VALU_DEP_1) | instskip(NEXT) | instid1(VALU_DEP_1)
	v_or_b32_e32 v12, 0x80, v11
	v_mul_lo_u16 v13, 0xeb, v12
	s_delay_alu instid0(VALU_DEP_1) | instskip(NEXT) | instid1(VALU_DEP_1)
	v_lshrrev_b16 v27, 13, v13
	v_mul_lo_u16 v13, v27, 35
	v_and_b32_e32 v27, 0xffff, v27
	v_add_nc_u32_e32 v25, v24, v25
	s_delay_alu instid0(VALU_DEP_3) | instskip(NEXT) | instid1(VALU_DEP_2)
	v_sub_nc_u16 v12, v12, v13
	v_add_nc_u32_e32 v26, v25, v26
	s_delay_alu instid0(VALU_DEP_2) | instskip(NEXT) | instid1(VALU_DEP_2)
	v_and_b32_e32 v12, 0xff, v12
	v_add_nc_u32_e32 v27, v26, v27
	v_mad_u32 v48, v25, s8, v10
	v_mad_u32 v49, v26, s8, v11
	s_delay_alu instid0(VALU_DEP_4) | instskip(NEXT) | instid1(VALU_DEP_4)
	v_or_b32_e32 v13, 0x80, v12
	v_mad_u32 v51, v27, s8, v12
	s_delay_alu instid0(VALU_DEP_2) | instskip(NEXT) | instid1(VALU_DEP_1)
	v_mul_lo_u16 v14, 0xeb, v13
	v_lshrrev_b16 v28, 13, v14
	s_delay_alu instid0(VALU_DEP_1) | instskip(SKIP_1) | instid1(VALU_DEP_2)
	v_mul_lo_u16 v14, v28, 35
	v_and_b32_e32 v28, 0xffff, v28
	v_sub_nc_u16 v13, v13, v14
	s_delay_alu instid0(VALU_DEP_1) | instskip(NEXT) | instid1(VALU_DEP_1)
	v_and_b32_e32 v13, 0xff, v13
	v_or_b32_e32 v14, 0x80, v13
	s_delay_alu instid0(VALU_DEP_1) | instskip(NEXT) | instid1(VALU_DEP_1)
	v_mul_lo_u16 v15, 0xeb, v14
	v_lshrrev_b16 v29, 13, v15
	s_delay_alu instid0(VALU_DEP_1) | instskip(SKIP_1) | instid1(VALU_DEP_2)
	v_mul_lo_u16 v15, v29, 35
	v_and_b32_e32 v29, 0xffff, v29
	v_sub_nc_u16 v14, v14, v15
	s_delay_alu instid0(VALU_DEP_1) | instskip(NEXT) | instid1(VALU_DEP_1)
	v_and_b32_e32 v14, 0xff, v14
	v_or_b32_e32 v15, 0x80, v14
	s_delay_alu instid0(VALU_DEP_1) | instskip(NEXT) | instid1(VALU_DEP_1)
	v_mul_lo_u16 v30, 0xeb, v15
	v_lshrrev_b16 v30, 13, v30
	s_delay_alu instid0(VALU_DEP_1) | instskip(SKIP_2) | instid1(VALU_DEP_3)
	v_mul_lo_u16 v31, v30, 35
	v_and_b32_e32 v30, 0xffff, v30
	v_add_nc_u32_e32 v28, v27, v28
	v_sub_nc_u16 v15, v15, v31
	s_delay_alu instid0(VALU_DEP_1) | instskip(NEXT) | instid1(VALU_DEP_1)
	v_and_b32_e32 v15, 0xff, v15
	v_or_b32_e32 v31, 0x80, v15
	s_delay_alu instid0(VALU_DEP_1) | instskip(NEXT) | instid1(VALU_DEP_1)
	v_mul_lo_u16 v32, 0xeb, v31
	v_lshrrev_b16 v32, 13, v32
	s_delay_alu instid0(VALU_DEP_1) | instskip(SKIP_2) | instid1(VALU_DEP_3)
	v_mul_lo_u16 v33, v32, 35
	v_and_b32_e32 v32, 0xffff, v32
	v_add_nc_u32_e32 v29, v28, v29
	v_sub_nc_u16 v31, v31, v33
	s_delay_alu instid0(VALU_DEP_2) | instskip(NEXT) | instid1(VALU_DEP_2)
	v_add_nc_u32_e32 v30, v29, v30
	v_and_b32_e32 v31, 0xff, v31
	s_delay_alu instid0(VALU_DEP_2) | instskip(NEXT) | instid1(VALU_DEP_2)
	v_add_nc_u32_e32 v32, v30, v32
	v_or_b32_e32 v33, 0x80, v31
	s_delay_alu instid0(VALU_DEP_2) | instskip(NEXT) | instid1(VALU_DEP_2)
	v_mad_u32 v56, v32, s8, v31
	v_mul_lo_u16 v34, 0xeb, v33
	s_delay_alu instid0(VALU_DEP_1) | instskip(NEXT) | instid1(VALU_DEP_1)
	v_lshrrev_b16 v34, 13, v34
	v_mul_lo_u16 v35, v34, 35
	v_and_b32_e32 v34, 0xffff, v34
	s_delay_alu instid0(VALU_DEP_2) | instskip(NEXT) | instid1(VALU_DEP_2)
	v_sub_nc_u16 v33, v33, v35
	v_add_nc_u32_e32 v34, v32, v34
	s_delay_alu instid0(VALU_DEP_2) | instskip(NEXT) | instid1(VALU_DEP_1)
	v_and_b32_e32 v33, 0xff, v33
	v_or_b32_e32 v35, 0x80, v33
	s_delay_alu instid0(VALU_DEP_3) | instskip(NEXT) | instid1(VALU_DEP_2)
	v_mad_u32 v16, v34, s8, v33
	v_mul_lo_u16 v36, 0xeb, v35
	s_delay_alu instid0(VALU_DEP_1) | instskip(NEXT) | instid1(VALU_DEP_1)
	v_lshrrev_b16 v36, 13, v36
	v_mul_lo_u16 v39, v36, 35
	v_and_b32_e32 v36, 0xffff, v36
	s_delay_alu instid0(VALU_DEP_2)
	v_sub_nc_u16 v35, v35, v39
	v_mad_u32 v39, v20, s8, v5
	s_clause 0x3
	global_load_b32 v38, v40, s[4:5] scale_offset
	global_load_b32 v45, v41, s[4:5] scale_offset
	;; [unrolled: 1-line block ×4, first 2 shown]
	v_and_b32_e32 v35, 0xff, v35
	s_wait_xcnt 0x3
	v_mad_u32 v40, v22, s8, v7
	s_wait_xcnt 0x2
	v_mad_u32 v41, v23, s8, v8
	;; [unrolled: 2-line block ×3, first 2 shown]
	v_lshlrev_b32_e32 v5, 2, v5
	v_or_b32_e32 v37, 0x80, v35
	s_delay_alu instid0(VALU_DEP_1) | instskip(NEXT) | instid1(VALU_DEP_1)
	v_mul_lo_u16 v39, 0xeb, v37
	v_lshrrev_b16 v39, 13, v39
	s_delay_alu instid0(VALU_DEP_1) | instskip(SKIP_1) | instid1(VALU_DEP_2)
	v_mul_lo_u16 v50, v39, 35
	v_and_b32_e32 v39, 0xffff, v39
	v_sub_nc_u16 v37, v37, v50
	s_clause 0x5
	global_load_b32 v50, v40, s[4:5] scale_offset
	global_load_b32 v52, v41, s[4:5] scale_offset
	;; [unrolled: 1-line block ×6, first 2 shown]
	s_wait_xcnt 0x3
	v_mad_u32 v42, v28, s8, v13
	s_wait_xcnt 0x1
	v_mad_u32 v49, v29, s8, v14
	v_and_b32_e32 v37, 0xff, v37
	s_wait_xcnt 0x0
	v_mad_u32 v51, v30, s8, v15
	s_clause 0x3
	global_load_b32 v58, v42, s[4:5] scale_offset
	global_load_b32 v59, v49, s[4:5] scale_offset
	;; [unrolled: 1-line block ×4, first 2 shown]
	v_or_b32_e32 v48, 0x80, v37
	s_delay_alu instid0(VALU_DEP_1) | instskip(NEXT) | instid1(VALU_DEP_1)
	v_mul_lo_u16 v55, 0xeb, v48
	v_lshrrev_b16 v55, 13, v55
	s_delay_alu instid0(VALU_DEP_1) | instskip(SKIP_3) | instid1(VALU_DEP_3)
	v_mul_lo_u16 v57, v55, 35
	s_wait_xcnt 0x3
	v_and_b32_e32 v42, 0xffff, v55
	v_add_nc_u32_e32 v36, v34, v36
	v_sub_nc_u16 v48, v48, v57
	s_delay_alu instid0(VALU_DEP_2) | instskip(NEXT) | instid1(VALU_DEP_2)
	v_add_nc_u32_e32 v39, v36, v39
	v_and_b32_e32 v48, 0xff, v48
	s_delay_alu instid0(VALU_DEP_2)
	v_add_nc_u32_e32 v42, v39, v42
	s_wait_xcnt 0x2
	v_mad_u32 v49, v36, s8, v35
	s_wait_xcnt 0x1
	v_mad_u32 v51, v39, s8, v37
	v_mad_u32 v55, v42, s8, v48
	s_clause 0x3
	global_load_b32 v56, v16, s[4:5] scale_offset
	global_load_b32 v57, v49, s[4:5] scale_offset
	;; [unrolled: 1-line block ×4, first 2 shown]
	s_wait_xcnt 0x3
	v_mul_u32_u24_e32 v16, 0x8c, v17
	s_wait_loadcnt 0x13
	ds_store_b32 v3, v43
	v_mul_u32_u24_e32 v3, 0x8c, v19
	v_add3_u32 v1, 0, v16, v1
	v_mul_u32_u24_e32 v16, 0x8c, v18
	s_delay_alu instid0(VALU_DEP_3)
	v_add3_u32 v3, 0, v3, v4
	v_mul_u32_u24_e32 v4, 0x8c, v21
	s_wait_loadcnt 0x12
	ds_store_b32 v1, v44
	v_add3_u32 v1, 0, v16, v2
	v_mul_u32_u24_e32 v2, 0x8c, v20
	s_wait_loadcnt 0x11
	ds_store_b32 v1, v38
	v_add3_u32 v1, 0, v2, v5
	v_mul_lo_u32 v2, 0x8c, v22
	s_wait_loadcnt 0x10
	ds_store_b32 v3, v45
	v_add3_u32 v3, 0, v4, v6
	v_mul_lo_u32 v4, 0x8c, v23
	v_mul_lo_u32 v5, 0x8c, v24
	;; [unrolled: 1-line block ×3, first 2 shown]
	s_wait_loadcnt 0xf
	ds_store_b32 v1, v46
	v_lshlrev_b32_e32 v1, 2, v7
	s_wait_loadcnt 0xe
	ds_store_b32 v3, v47
	v_dual_lshlrev_b32 v3, 2, v8 :: v_dual_lshlrev_b32 v7, 2, v9
	v_mul_lo_u32 v8, 0x8c, v26
	v_add3_u32 v1, 0, v2, v1
	v_lshlrev_b32_e32 v2, 2, v10
	s_delay_alu instid0(VALU_DEP_4)
	v_add3_u32 v3, 0, v4, v3
	v_add3_u32 v4, 0, v5, v7
	v_mul_lo_u32 v5, 0x8c, v27
	v_dual_lshlrev_b32 v9, 2, v37 :: v_dual_lshlrev_b32 v7, 2, v14
	v_lshlrev_b32_e32 v10, 2, v48
	s_wait_loadcnt 0xd
	ds_store_b32 v1, v50
	v_add3_u32 v1, 0, v6, v2
	v_lshlrev_b32_e32 v2, 2, v11
	s_wait_loadcnt 0xc
	ds_store_b32 v3, v52
	s_wait_loadcnt 0xb
	ds_store_b32 v4, v40
	v_lshlrev_b32_e32 v3, 2, v12
	v_mul_lo_u32 v4, 0x8c, v29
	s_wait_loadcnt 0xa
	ds_store_b32 v1, v41
	v_add3_u32 v1, 0, v8, v2
	v_mul_lo_u32 v2, 0x8c, v28
	v_add3_u32 v3, 0, v5, v3
	v_mul_lo_u32 v5, 0x8c, v30
	v_mul_lo_u32 v6, 0x8c, v32
	s_wait_loadcnt 0x9
	ds_store_b32 v1, v53
	v_lshlrev_b32_e32 v1, 2, v13
	s_wait_loadcnt 0x8
	ds_store_b32 v3, v54
	v_lshlrev_b32_e32 v3, 2, v15
	v_lshlrev_b32_e32 v8, 2, v31
	v_add3_u32 v1, 0, v2, v1
	v_add3_u32 v2, 0, v4, v7
	v_or_b32_e32 v4, 0x80, v48
	v_add3_u32 v3, 0, v5, v3
	v_add3_u32 v5, 0, v6, v8
	v_mul_lo_u32 v6, 0x8c, v34
	s_wait_loadcnt 0x7
	ds_store_b32 v1, v58
	v_mul_lo_u16 v1, 0xeb, v4
	s_wait_loadcnt 0x6
	ds_store_b32 v2, v59
	s_wait_loadcnt 0x5
	ds_store_b32 v3, v60
	s_wait_loadcnt 0x4
	ds_store_b32 v5, v61
	v_lshlrev_b32_e32 v2, 2, v33
	v_mul_lo_u32 v3, 0x8c, v36
	v_mul_lo_u32 v5, 0x8c, v39
	v_lshrrev_b16 v1, 13, v1
	v_mul_lo_u32 v7, 0x8c, v42
	v_lshlrev_b32_e32 v8, 2, v35
	v_add3_u32 v6, 0, v6, v2
	s_delay_alu instid0(VALU_DEP_4) | instskip(SKIP_1) | instid1(VALU_DEP_4)
	v_mul_lo_u16 v2, v1, 35
	v_and_b32_e32 v1, 0xffff, v1
	v_add3_u32 v3, 0, v3, v8
	s_delay_alu instid0(VALU_DEP_3) | instskip(NEXT) | instid1(VALU_DEP_3)
	v_sub_nc_u16 v2, v4, v2
	v_add_nc_u32_e32 v1, v42, v1
	v_add3_u32 v4, 0, v5, v9
	v_add3_u32 v5, 0, v7, v10
	s_wait_loadcnt 0x3
	ds_store_b32 v6, v56
	s_wait_loadcnt 0x2
	ds_store_b32 v3, v57
	;; [unrolled: 2-line block ×4, first 2 shown]
	v_and_b32_e32 v2, 0xff, v2
	v_cmpx_gt_u32_e32 0x80, v1
	s_cbranch_execz .LBB3_2
; %bb.1:
	s_delay_alu instid0(VALU_DEP_2)
	v_mad_u32 v3, v1, s8, v2
	v_mul_lo_u32 v4, 0x8c, v1
	v_lshlrev_b32_e32 v5, 2, v2
	global_load_b32 v3, v3, s[4:5] scale_offset
	v_add3_u32 v4, 0, v4, v5
	s_wait_loadcnt 0x0
	ds_store_b32 v4, v3
.LBB3_2:
	s_or_b32 exec_lo, exec_lo, s6
	s_delay_alu instid0(VALU_DEP_2) | instskip(SKIP_1) | instid1(VALU_DEP_1)
	v_or_b32_e32 v2, 0x80, v2
	s_mov_b32 s6, exec_lo
	v_mul_lo_u16 v3, 0xeb, v2
	s_delay_alu instid0(VALU_DEP_1) | instskip(NEXT) | instid1(VALU_DEP_1)
	v_lshrrev_b16 v3, 13, v3
	v_mul_lo_u16 v4, v3, 35
	v_and_b32_e32 v3, 0xffff, v3
	s_delay_alu instid0(VALU_DEP_2) | instskip(NEXT) | instid1(VALU_DEP_2)
	v_sub_nc_u16 v2, v2, v4
	v_add_nc_u32_e32 v1, v1, v3
	s_delay_alu instid0(VALU_DEP_2) | instskip(NEXT) | instid1(VALU_DEP_2)
	v_and_b32_e32 v2, 0xff, v2
	v_cmpx_gt_u32_e32 0x80, v1
	s_cbranch_execz .LBB3_4
; %bb.3:
	s_delay_alu instid0(VALU_DEP_2)
	v_mad_u32 v3, v1, s8, v2
	v_mul_lo_u32 v4, 0x8c, v1
	v_lshlrev_b32_e32 v5, 2, v2
	global_load_b32 v3, v3, s[4:5] scale_offset
	v_add3_u32 v4, 0, v4, v5
	s_wait_loadcnt 0x0
	ds_store_b32 v4, v3
.LBB3_4:
	s_or_b32 exec_lo, exec_lo, s6
	s_delay_alu instid0(VALU_DEP_2) | instskip(SKIP_1) | instid1(VALU_DEP_1)
	v_or_b32_e32 v2, 0x80, v2
	s_mov_b32 s6, exec_lo
	v_mul_lo_u16 v3, 0xeb, v2
	s_delay_alu instid0(VALU_DEP_1) | instskip(NEXT) | instid1(VALU_DEP_1)
	v_lshrrev_b16 v3, 13, v3
	v_mul_lo_u16 v4, v3, 35
	v_and_b32_e32 v3, 0xffff, v3
	s_delay_alu instid0(VALU_DEP_2) | instskip(NEXT) | instid1(VALU_DEP_2)
	v_sub_nc_u16 v2, v2, v4
	v_add_nc_u32_e32 v1, v1, v3
	s_delay_alu instid0(VALU_DEP_2) | instskip(NEXT) | instid1(VALU_DEP_2)
	;; [unrolled: 26-line block ×7, first 2 shown]
	v_and_b32_e32 v2, 0xff, v2
	v_cmpx_gt_u32_e32 0x80, v1
	s_cbranch_execz .LBB3_16
; %bb.15:
	s_delay_alu instid0(VALU_DEP_2)
	v_mad_u32 v3, v1, s8, v2
	v_mul_lo_u32 v4, 0x8c, v1
	v_lshlrev_b32_e32 v5, 2, v2
	global_load_b32 v3, v3, s[4:5] scale_offset
	v_add3_u32 v4, 0, v4, v5
	s_wait_loadcnt 0x0
	ds_store_b32 v4, v3
.LBB3_16:
	s_or_b32 exec_lo, exec_lo, s6
	s_delay_alu instid0(SALU_CYCLE_1)
	s_mov_b32 s6, exec_lo
	v_cmpx_gt_u32_e32 0x380, v0
	s_cbranch_execz .LBB3_37
; %bb.17:
	v_or_b32_e32 v2, 0x80, v2
	s_mov_b32 s9, exec_lo
	s_delay_alu instid0(VALU_DEP_1) | instskip(NEXT) | instid1(VALU_DEP_1)
	v_mul_lo_u16 v3, 0xeb, v2
	v_lshrrev_b16 v3, 13, v3
	s_delay_alu instid0(VALU_DEP_1) | instskip(SKIP_1) | instid1(VALU_DEP_2)
	v_mul_lo_u16 v4, v3, 35
	v_and_b32_e32 v3, 0xffff, v3
	v_sub_nc_u16 v2, v2, v4
	s_delay_alu instid0(VALU_DEP_2) | instskip(NEXT) | instid1(VALU_DEP_2)
	v_add_nc_u32_e32 v1, v1, v3
	v_and_b32_e32 v2, 0xff, v2
	s_delay_alu instid0(VALU_DEP_2)
	v_cmpx_gt_u32_e32 0x80, v1
	s_cbranch_execz .LBB3_19
; %bb.18:
	s_delay_alu instid0(VALU_DEP_2)
	v_mad_u32 v3, v1, s8, v2
	v_mul_lo_u32 v4, 0x8c, v1
	v_lshlrev_b32_e32 v5, 2, v2
	global_load_b32 v3, v3, s[4:5] scale_offset
	v_add3_u32 v4, 0, v4, v5
	s_wait_loadcnt 0x0
	ds_store_b32 v4, v3
.LBB3_19:
	s_or_b32 exec_lo, exec_lo, s9
	v_cmp_gt_u32_e32 vcc_lo, 0x300, v0
	s_and_b32 exec_lo, exec_lo, vcc_lo
	s_cbranch_execz .LBB3_37
; %bb.20:
	v_or_b32_e32 v2, 0x80, v2
	s_mov_b32 s9, exec_lo
	s_delay_alu instid0(VALU_DEP_1) | instskip(NEXT) | instid1(VALU_DEP_1)
	v_mul_lo_u16 v3, 0xeb, v2
	v_lshrrev_b16 v3, 13, v3
	s_delay_alu instid0(VALU_DEP_1) | instskip(SKIP_1) | instid1(VALU_DEP_2)
	v_mul_lo_u16 v4, v3, 35
	v_and_b32_e32 v3, 0xffff, v3
	v_sub_nc_u16 v2, v2, v4
	s_delay_alu instid0(VALU_DEP_2) | instskip(NEXT) | instid1(VALU_DEP_2)
	v_add_nc_u32_e32 v1, v1, v3
	v_and_b32_e32 v2, 0xff, v2
	s_delay_alu instid0(VALU_DEP_2)
	v_cmpx_gt_u32_e32 0x80, v1
	s_cbranch_execz .LBB3_22
; %bb.21:
	s_delay_alu instid0(VALU_DEP_2)
	v_mad_u32 v3, v1, s8, v2
	v_mul_lo_u32 v4, 0x8c, v1
	v_lshlrev_b32_e32 v5, 2, v2
	global_load_b32 v3, v3, s[4:5] scale_offset
	v_add3_u32 v4, 0, v4, v5
	s_wait_loadcnt 0x0
	ds_store_b32 v4, v3
.LBB3_22:
	s_or_b32 exec_lo, exec_lo, s9
	v_cmp_gt_u32_e32 vcc_lo, 0x280, v0
	s_and_b32 exec_lo, exec_lo, vcc_lo
	;; [unrolled: 30-line block ×6, first 2 shown]
	s_cbranch_execz .LBB3_37
; %bb.35:
	v_or_b32_e32 v2, 0x80, v2
	s_delay_alu instid0(VALU_DEP_1) | instskip(NEXT) | instid1(VALU_DEP_1)
	v_mul_lo_u16 v3, 0xeb, v2
	v_lshrrev_b16 v3, 13, v3
	s_delay_alu instid0(VALU_DEP_1) | instskip(NEXT) | instid1(VALU_DEP_1)
	v_and_b32_e32 v4, 0xffff, v3
	v_add_nc_u32_e32 v1, v1, v4
	s_delay_alu instid0(VALU_DEP_1)
	v_cmp_gt_u32_e32 vcc_lo, 0x80, v1
	s_and_b32 exec_lo, exec_lo, vcc_lo
	s_cbranch_execz .LBB3_37
; %bb.36:
	v_mul_lo_u16 v3, v3, 35
	s_delay_alu instid0(VALU_DEP_1) | instskip(NEXT) | instid1(VALU_DEP_1)
	v_sub_nc_u16 v2, v2, v3
	v_and_b32_e32 v2, 0xff, v2
	s_delay_alu instid0(VALU_DEP_1)
	v_mad_u32 v3, v1, s8, v2
	v_mul_lo_u32 v1, 0x8c, v1
	v_lshlrev_b32_e32 v2, 2, v2
	global_load_b32 v3, v3, s[4:5] scale_offset
	v_add3_u32 v1, 0, v1, v2
	s_wait_loadcnt 0x0
	ds_store_b32 v1, v3
.LBB3_37:
	s_or_b32 exec_lo, exec_lo, s6
	s_clause 0x1
	s_load_b128 s[8:11], s[0:1], 0x8
	s_load_b64 s[14:15], s[0:1], 0x28
	s_ashr_i32 s4, s7, 2
	s_ashr_i32 s5, s7, 31
	v_mul_lo_u32 v2, s4, v0
	s_mov_b32 s4, s7
	s_wait_dscnt 0x0
	s_mul_u64 s[4:5], s[2:3], s[4:5]
	s_barrier_signal -1
	s_barrier_wait -1
	s_delay_alu instid0(VALU_DEP_1) | instskip(SKIP_3) | instid1(VALU_DEP_1)
	v_ashrrev_i32_e32 v3, 31, v2
	s_wait_kmcnt 0x0
	s_add_nc_u64 s[4:5], s[8:9], s[4:5]
	s_cmp_eq_u64 s[10:11], 0
	v_lshl_add_u64 v[2:3], v[2:3], 2, s[4:5]
	global_load_b128 v[2:5], v[2:3], off
	s_cbranch_scc1 .LBB3_39
; %bb.38:
	s_lshl_b64 s[4:5], s[2:3], 2
	s_delay_alu instid0(SALU_CYCLE_1)
	s_add_nc_u64 s[4:5], s[10:11], s[4:5]
	global_load_b32 v6, v0, s[4:5] scale_offset
	s_branch .LBB3_40
.LBB3_39:
	v_mov_b32_e32 v6, 0
.LBB3_40:
	s_wait_xcnt 0x0
	s_load_b64 s[4:5], s[0:1], 0x40
	s_wait_kmcnt 0x0
	s_sub_nc_u64 s[6:7], s[4:5], s[12:13]
	s_delay_alu instid0(SALU_CYCLE_1)
	v_cmp_lt_i64_e64 s4, s[6:7], 1
	s_and_b32 vcc_lo, exec_lo, s4
	s_cbranch_vccnz .LBB3_48
; %bb.41:
	v_min_u64 v[8:9], s[6:7], 32
	s_load_b96 s[8:10], s[0:1], 0x30
	v_mul_u32_u24_e32 v20, 0x8c, v0
	v_dual_mov_b32 v1, 0 :: v_dual_lshlrev_b32 v0, 2, v0
	s_wait_kmcnt 0x0
	s_mul_i32 s0, s10, s16
	s_ashr_i32 s11, s9, 31
	s_ashr_i32 s17, s8, 31
	;; [unrolled: 1-line block ×4, first 2 shown]
	s_cmp_eq_u64 s[6:7], 1
	s_mov_b32 s16, s8
	s_cselect_b32 s5, -1, 0
	s_cmp_lg_u32 s4, 1
	s_mov_b32 s10, s9
	s_cselect_b32 s8, -1, 0
	s_mul_u64 s[6:7], s[12:13], s[10:11]
	s_or_b32 s5, s5, s8
	s_mul_u64 s[8:9], s[2:3], s[16:17]
	s_delay_alu instid0(VALU_DEP_3) | instskip(NEXT) | instid1(VALU_DEP_4)
	v_readfirstlane_b32 s2, v8
	v_readfirstlane_b32 s3, v9
	s_and_b32 vcc_lo, exec_lo, s5
	s_add_nc_u64 s[10:11], s[14:15], s[0:1]
	s_cbranch_vccnz .LBB3_45
; %bb.42:
	s_wait_loadcnt 0x0
	v_dual_mov_b32 v12, v2 :: v_dual_add_nc_u32 v21, 0, v20
	s_add_nc_u64 s[0:1], s[10:11], s[6:7]
	v_dual_mov_b32 v13, v2 :: v_dual_mov_b32 v14, v3
	ds_load_2addr_b32 v[8:9], v21 offset1:1
	s_add_nc_u64 s[0:1], s[0:1], s[8:9]
	v_dual_mov_b32 v15, v3 :: v_dual_mov_b32 v16, v4
	v_add_nc_u64_e32 v[10:11], s[0:1], v[0:1]
	v_dual_mov_b32 v17, v4 :: v_dual_mov_b32 v18, v5
	v_dual_mov_b32 v19, v5 :: v_dual_mov_b32 v7, v6
	s_and_b64 s[12:13], s[2:3], 62
	s_delay_alu instid0(SALU_CYCLE_1)
	s_mov_b64 s[14:15], s[12:13]
.LBB3_43:                               ; =>This Inner Loop Header: Depth=1
	ds_load_2addr_b32 v[22:23], v21 offset0:1 offset1:2
	s_wait_dscnt 0x1
	v_pk_fma_f32 v[24:25], v[12:13], v[8:9], 0 op_sel_hi:[1,1,0]
	ds_load_2addr_b32 v[8:9], v21 offset0:2 offset1:3
	ds_load_2addr_b32 v[26:27], v21 offset0:3 offset1:4
	s_add_nc_u64 s[14:15], s[14:15], -2
	v_add_nc_u32_e32 v21, 8, v21
	s_cmp_lg_u64 s[14:15], 0
	s_wait_dscnt 0x2
	v_pk_fma_f32 v[22:23], v[14:15], v[22:23], v[24:25]
	s_wait_dscnt 0x1
	s_delay_alu instid0(VALU_DEP_1) | instskip(SKIP_1) | instid1(VALU_DEP_1)
	v_pk_fma_f32 v[22:23], v[16:17], v[8:9], v[22:23]
	s_wait_dscnt 0x0
	v_pk_fma_f32 v[22:23], v[18:19], v[26:27], v[22:23]
	s_delay_alu instid0(VALU_DEP_1) | instskip(NEXT) | instid1(VALU_DEP_1)
	v_pk_add_f32 v[22:23], v[6:7], v[22:23]
	v_dual_mul_f32 v1, 0xbfb8aa3b, v23 :: v_dual_mul_f32 v24, 0xbfb8aa3b, v22
	v_cmp_nlt_f32_e32 vcc_lo, 0x42ce8ed0, v22
	v_cmp_nlt_f32_e64 s0, 0x42ce8ed0, v23
	s_delay_alu instid0(VALU_DEP_3) | instskip(NEXT) | instid1(VALU_DEP_4)
	v_fma_f32 v25, 0xbfb8aa3b, v23, -v1
	v_fma_f32 v27, 0xbfb8aa3b, v22, -v24
	v_rndne_f32_e32 v28, v24
	v_rndne_f32_e32 v26, v1
	s_delay_alu instid0(VALU_DEP_4) | instskip(NEXT) | instid1(VALU_DEP_3)
	v_fmac_f32_e32 v25, 0xb2a5705f, v23
	v_dual_fmac_f32 v27, 0xb2a5705f, v22 :: v_dual_sub_f32 v24, v24, v28
	s_delay_alu instid0(VALU_DEP_1) | instskip(NEXT) | instid1(VALU_DEP_1)
	v_dual_sub_f32 v1, v1, v26 :: v_dual_add_f32 v24, v24, v27
	v_add_f32_e32 v1, v1, v25
	v_cvt_i32_f32_e32 v25, v26
	v_cvt_i32_f32_e32 v26, v28
	s_delay_alu instid0(VALU_DEP_4) | instskip(SKIP_1) | instid1(TRANS32_DEP_1)
	v_exp_f32_e32 v24, v24
	v_nop
	v_ldexp_f32 v24, v24, v26
	s_delay_alu instid0(VALU_DEP_1) | instskip(SKIP_1) | instid1(VALU_DEP_2)
	v_cndmask_b32_e32 v24, 0, v24, vcc_lo
	v_cmp_ngt_f32_e32 vcc_lo, 0xc2b17218, v22
	v_cndmask_b32_e32 v24, 0x7f800000, v24, vcc_lo
	v_exp_f32_e32 v1, v1
	v_nop
	s_delay_alu instid0(TRANS32_DEP_1) | instskip(NEXT) | instid1(VALU_DEP_1)
	v_ldexp_f32 v1, v1, v25
	v_cndmask_b32_e64 v1, 0, v1, s0
	v_cmp_ngt_f32_e64 s0, 0xc2b17218, v23
	s_delay_alu instid0(VALU_DEP_1) | instskip(NEXT) | instid1(VALU_DEP_1)
	v_cndmask_b32_e64 v25, 0x7f800000, v1, s0
	v_pk_add_f32 v[24:25], v[24:25], 1.0 op_sel_hi:[1,0]
	s_delay_alu instid0(VALU_DEP_1) | instskip(NEXT) | instid1(VALU_DEP_2)
	v_div_scale_f32 v1, null, v25, v25, v23
	v_div_scale_f32 v26, null, v24, v24, v22
	v_div_scale_f32 v27, vcc_lo, v23, v25, v23
	s_delay_alu instid0(VALU_DEP_3) | instskip(NEXT) | instid1(VALU_DEP_2)
	v_rcp_f32_e32 v28, v1
	v_rcp_f32_e32 v29, v26
	v_div_scale_f32 v30, s0, v22, v24, v22
	s_delay_alu instid0(TRANS32_DEP_2) | instskip(NEXT) | instid1(TRANS32_DEP_1)
	v_fma_f32 v31, -v1, v28, 1.0
	v_fma_f32 v32, -v26, v29, 1.0
	s_delay_alu instid0(VALU_DEP_1) | instskip(NEXT) | instid1(VALU_DEP_1)
	v_dual_fmac_f32 v28, v31, v28 :: v_dual_fmac_f32 v29, v32, v29
	v_dual_mul_f32 v31, v27, v28 :: v_dual_mul_f32 v32, v30, v29
	s_delay_alu instid0(VALU_DEP_1) | instskip(NEXT) | instid1(VALU_DEP_1)
	v_fma_f32 v33, -v1, v31, v27
	v_fmac_f32_e32 v31, v33, v28
	s_delay_alu instid0(VALU_DEP_1) | instskip(NEXT) | instid1(VALU_DEP_1)
	v_dual_fma_f32 v34, -v26, v32, v30 :: v_dual_fma_f32 v1, -v1, v31, v27
	v_fmac_f32_e32 v32, v34, v29
	s_delay_alu instid0(VALU_DEP_2) | instskip(NEXT) | instid1(VALU_DEP_2)
	v_div_fmas_f32 v1, v1, v28, v31
	v_fma_f32 v26, -v26, v32, v30
	s_mov_b32 vcc_lo, s0
	s_delay_alu instid0(VALU_DEP_2) | instskip(NEXT) | instid1(VALU_DEP_2)
	v_div_fixup_f32 v23, v1, v25, v23
	v_div_fmas_f32 v26, v26, v29, v32
	s_delay_alu instid0(VALU_DEP_1)
	v_div_fixup_f32 v22, v26, v24, v22
	global_store_b64 v[10:11], v[22:23], off
	s_wait_xcnt 0x0
	v_add_nc_u64_e32 v[10:11], 8, v[10:11]
	s_cbranch_scc1 .LBB3_43
; %bb.44:
	s_cmp_lg_u64 s[2:3], s[12:13]
	s_cselect_b32 s0, -1, 0
	s_delay_alu instid0(SALU_CYCLE_1)
	s_and_b32 vcc_lo, exec_lo, s0
	s_cbranch_vccnz .LBB3_46
	s_branch .LBB3_48
.LBB3_45:
	s_mov_b64 s[12:13], 0
	s_cbranch_execz .LBB3_48
.LBB3_46:
	s_ashr_i32 s5, s4, 31
	s_add_nc_u64 s[6:7], s[8:9], s[6:7]
	s_mul_u64 s[0:1], s[12:13], s[4:5]
	v_mov_b32_e32 v1, 0
	s_lshl_b64 s[0:1], s[0:1], 2
	s_delay_alu instid0(SALU_CYCLE_1) | instskip(NEXT) | instid1(SALU_CYCLE_1)
	s_add_nc_u64 s[0:1], s[6:7], s[0:1]
	s_add_nc_u64 s[0:1], s[10:11], s[0:1]
	s_delay_alu instid0(VALU_DEP_1) | instid1(SALU_CYCLE_1)
	v_add_nc_u64_e32 v[0:1], s[0:1], v[0:1]
	s_lshl_b32 s0, s12, 2
	s_delay_alu instid0(SALU_CYCLE_1)
	v_add3_u32 v7, 0, s0, v20
	s_sub_nc_u64 s[0:1], s[2:3], s[12:13]
	s_lshl_b64 s[2:3], s[4:5], 2
.LBB3_47:                               ; =>This Inner Loop Header: Depth=1
	ds_load_2addr_b32 v[8:9], v7 offset1:1
	ds_load_2addr_b32 v[10:11], v7 offset0:2 offset1:3
	v_add_nc_u32_e32 v7, 4, v7
	s_add_nc_u64 s[0:1], s[0:1], -1
	s_delay_alu instid0(SALU_CYCLE_1) | instskip(SKIP_4) | instid1(VALU_DEP_2)
	s_cmp_lg_u64 s[0:1], 0
	s_wait_loadcnt_dscnt 0x1
	v_pk_mul_f32 v[8:9], v[2:3], v[8:9]
	s_wait_dscnt 0x0
	v_pk_mul_f32 v[10:11], v[4:5], v[10:11]
	v_add_f32_e32 v8, 0, v8
	s_delay_alu instid0(VALU_DEP_1) | instskip(NEXT) | instid1(VALU_DEP_1)
	v_add_f32_e32 v8, v8, v9
	v_add_f32_e32 v8, v8, v10
	s_delay_alu instid0(VALU_DEP_1) | instskip(NEXT) | instid1(VALU_DEP_1)
	v_add_f32_e32 v8, v8, v11
	v_add_f32_e32 v8, v6, v8
	s_delay_alu instid0(VALU_DEP_1) | instskip(SKIP_1) | instid1(VALU_DEP_2)
	v_mul_f32_e32 v9, 0xbfb8aa3b, v8
	v_cmp_nlt_f32_e32 vcc_lo, 0x42ce8ed0, v8
	v_fma_f32 v10, 0xbfb8aa3b, v8, -v9
	v_rndne_f32_e32 v11, v9
	s_delay_alu instid0(VALU_DEP_1) | instskip(NEXT) | instid1(VALU_DEP_1)
	v_dual_fmac_f32 v10, 0xb2a5705f, v8 :: v_dual_sub_f32 v9, v9, v11
	v_add_f32_e32 v9, v9, v10
	v_cvt_i32_f32_e32 v10, v11
	s_delay_alu instid0(VALU_DEP_2) | instskip(SKIP_1) | instid1(TRANS32_DEP_1)
	v_exp_f32_e32 v9, v9
	v_nop
	v_ldexp_f32 v9, v9, v10
	s_delay_alu instid0(VALU_DEP_1) | instskip(SKIP_1) | instid1(VALU_DEP_2)
	v_cndmask_b32_e32 v9, 0, v9, vcc_lo
	v_cmp_ngt_f32_e32 vcc_lo, 0xc2b17218, v8
	v_cndmask_b32_e32 v9, 0x7f800000, v9, vcc_lo
	s_delay_alu instid0(VALU_DEP_1) | instskip(NEXT) | instid1(VALU_DEP_1)
	v_add_f32_e32 v9, 1.0, v9
	v_div_scale_f32 v10, null, v9, v9, v8
	v_div_scale_f32 v13, vcc_lo, v8, v9, v8
	s_delay_alu instid0(VALU_DEP_2) | instskip(SKIP_1) | instid1(TRANS32_DEP_1)
	v_rcp_f32_e32 v11, v10
	v_nop
	v_fma_f32 v12, -v10, v11, 1.0
	s_delay_alu instid0(VALU_DEP_1) | instskip(NEXT) | instid1(VALU_DEP_1)
	v_fmac_f32_e32 v11, v12, v11
	v_mul_f32_e32 v12, v13, v11
	s_delay_alu instid0(VALU_DEP_1) | instskip(NEXT) | instid1(VALU_DEP_1)
	v_fma_f32 v14, -v10, v12, v13
	v_fmac_f32_e32 v12, v14, v11
	s_delay_alu instid0(VALU_DEP_1) | instskip(NEXT) | instid1(VALU_DEP_1)
	v_fma_f32 v10, -v10, v12, v13
	v_div_fmas_f32 v10, v10, v11, v12
	s_delay_alu instid0(VALU_DEP_1)
	v_div_fixup_f32 v8, v10, v9, v8
	global_store_b32 v[0:1], v8, off
	s_wait_xcnt 0x0
	v_add_nc_u64_e32 v[0:1], s[2:3], v[0:1]
	s_cbranch_scc1 .LBB3_47
.LBB3_48:
	s_endpgm
	.section	.rodata,"a",@progbits
	.p2align	6, 0x0
	.amdhsa_kernel _ZL23ssm_conv_long_token_f32ILb1ELm128ELm4ELl32EEvPKfS1_S1_iiiiPfiiil
		.amdhsa_group_segment_fixed_size 0
		.amdhsa_private_segment_fixed_size 0
		.amdhsa_kernarg_size 72
		.amdhsa_user_sgpr_count 2
		.amdhsa_user_sgpr_dispatch_ptr 0
		.amdhsa_user_sgpr_queue_ptr 0
		.amdhsa_user_sgpr_kernarg_segment_ptr 1
		.amdhsa_user_sgpr_dispatch_id 0
		.amdhsa_user_sgpr_kernarg_preload_length 0
		.amdhsa_user_sgpr_kernarg_preload_offset 0
		.amdhsa_user_sgpr_private_segment_size 0
		.amdhsa_wavefront_size32 1
		.amdhsa_uses_dynamic_stack 0
		.amdhsa_enable_private_segment 0
		.amdhsa_system_sgpr_workgroup_id_x 1
		.amdhsa_system_sgpr_workgroup_id_y 1
		.amdhsa_system_sgpr_workgroup_id_z 1
		.amdhsa_system_sgpr_workgroup_info 0
		.amdhsa_system_vgpr_workitem_id 0
		.amdhsa_next_free_vgpr 64
		.amdhsa_next_free_sgpr 20
		.amdhsa_named_barrier_count 0
		.amdhsa_reserve_vcc 1
		.amdhsa_float_round_mode_32 0
		.amdhsa_float_round_mode_16_64 0
		.amdhsa_float_denorm_mode_32 3
		.amdhsa_float_denorm_mode_16_64 3
		.amdhsa_fp16_overflow 0
		.amdhsa_memory_ordered 1
		.amdhsa_forward_progress 1
		.amdhsa_inst_pref_size 53
		.amdhsa_round_robin_scheduling 0
		.amdhsa_exception_fp_ieee_invalid_op 0
		.amdhsa_exception_fp_denorm_src 0
		.amdhsa_exception_fp_ieee_div_zero 0
		.amdhsa_exception_fp_ieee_overflow 0
		.amdhsa_exception_fp_ieee_underflow 0
		.amdhsa_exception_fp_ieee_inexact 0
		.amdhsa_exception_int_div_zero 0
	.end_amdhsa_kernel
	.section	.text._ZL23ssm_conv_long_token_f32ILb1ELm128ELm4ELl32EEvPKfS1_S1_iiiiPfiiil,"axG",@progbits,_ZL23ssm_conv_long_token_f32ILb1ELm128ELm4ELl32EEvPKfS1_S1_iiiiPfiiil,comdat
.Lfunc_end3:
	.size	_ZL23ssm_conv_long_token_f32ILb1ELm128ELm4ELl32EEvPKfS1_S1_iiiiPfiiil, .Lfunc_end3-_ZL23ssm_conv_long_token_f32ILb1ELm128ELm4ELl32EEvPKfS1_S1_iiiiPfiiil
                                        ; -- End function
	.set _ZL23ssm_conv_long_token_f32ILb1ELm128ELm4ELl32EEvPKfS1_S1_iiiiPfiiil.num_vgpr, 64
	.set _ZL23ssm_conv_long_token_f32ILb1ELm128ELm4ELl32EEvPKfS1_S1_iiiiPfiiil.num_agpr, 0
	.set _ZL23ssm_conv_long_token_f32ILb1ELm128ELm4ELl32EEvPKfS1_S1_iiiiPfiiil.numbered_sgpr, 20
	.set _ZL23ssm_conv_long_token_f32ILb1ELm128ELm4ELl32EEvPKfS1_S1_iiiiPfiiil.num_named_barrier, 0
	.set _ZL23ssm_conv_long_token_f32ILb1ELm128ELm4ELl32EEvPKfS1_S1_iiiiPfiiil.private_seg_size, 0
	.set _ZL23ssm_conv_long_token_f32ILb1ELm128ELm4ELl32EEvPKfS1_S1_iiiiPfiiil.uses_vcc, 1
	.set _ZL23ssm_conv_long_token_f32ILb1ELm128ELm4ELl32EEvPKfS1_S1_iiiiPfiiil.uses_flat_scratch, 0
	.set _ZL23ssm_conv_long_token_f32ILb1ELm128ELm4ELl32EEvPKfS1_S1_iiiiPfiiil.has_dyn_sized_stack, 0
	.set _ZL23ssm_conv_long_token_f32ILb1ELm128ELm4ELl32EEvPKfS1_S1_iiiiPfiiil.has_recursion, 0
	.set _ZL23ssm_conv_long_token_f32ILb1ELm128ELm4ELl32EEvPKfS1_S1_iiiiPfiiil.has_indirect_call, 0
	.section	.AMDGPU.csdata,"",@progbits
; Kernel info:
; codeLenInByte = 6696
; TotalNumSgprs: 22
; NumVgprs: 64
; ScratchSize: 0
; MemoryBound: 0
; FloatMode: 240
; IeeeMode: 1
; LDSByteSize: 0 bytes/workgroup (compile time only)
; SGPRBlocks: 0
; VGPRBlocks: 3
; NumSGPRsForWavesPerEU: 22
; NumVGPRsForWavesPerEU: 64
; NamedBarCnt: 0
; Occupancy: 16
; WaveLimiterHint : 0
; COMPUTE_PGM_RSRC2:SCRATCH_EN: 0
; COMPUTE_PGM_RSRC2:USER_SGPR: 2
; COMPUTE_PGM_RSRC2:TRAP_HANDLER: 0
; COMPUTE_PGM_RSRC2:TGID_X_EN: 1
; COMPUTE_PGM_RSRC2:TGID_Y_EN: 1
; COMPUTE_PGM_RSRC2:TGID_Z_EN: 1
; COMPUTE_PGM_RSRC2:TIDIG_COMP_CNT: 0
	.section	.text._ZL12ssm_conv_f32ILb1ELm128ELm5EEvPKfS1_S1_iiiiPfiiil,"axG",@progbits,_ZL12ssm_conv_f32ILb1ELm128ELm5EEvPKfS1_S1_iiiiPfiiil,comdat
	.globl	_ZL12ssm_conv_f32ILb1ELm128ELm5EEvPKfS1_S1_iiiiPfiiil ; -- Begin function _ZL12ssm_conv_f32ILb1ELm128ELm5EEvPKfS1_S1_iiiiPfiiil
	.p2align	8
	.type	_ZL12ssm_conv_f32ILb1ELm128ELm5EEvPKfS1_S1_iiiiPfiiil,@function
_ZL12ssm_conv_f32ILb1ELm128ELm5EEvPKfS1_S1_iiiiPfiiil: ; @_ZL12ssm_conv_f32ILb1ELm128ELm5EEvPKfS1_S1_iiiiPfiiil
; %bb.0:
	s_load_b64 s[2:3], s[0:1], 0x10
	s_bfe_u32 s4, ttmp6, 0x40010
	s_bfe_u32 s5, ttmp6, 0x40004
	s_add_co_i32 s4, s4, 1
	s_getreg_b32 s7, hwreg(HW_REG_IB_STS2, 6, 4)
	s_mul_i32 s4, ttmp7, s4
	s_delay_alu instid0(SALU_CYCLE_1) | instskip(SKIP_2) | instid1(SALU_CYCLE_1)
	s_add_co_i32 s5, s5, s4
	s_cmp_eq_u32 s7, 0
	s_cselect_b32 s4, ttmp7, s5
	s_ashr_i32 s5, s4, 31
	s_delay_alu instid0(SALU_CYCLE_1)
	s_lshl_b64 s[8:9], s[4:5], 7
	s_wait_kmcnt 0x0
	s_cmp_eq_u64 s[2:3], 0
	s_cbranch_scc1 .LBB4_2
; %bb.1:
	s_lshl_b64 s[4:5], s[8:9], 2
	s_delay_alu instid0(SALU_CYCLE_1)
	s_add_nc_u64 s[2:3], s[2:3], s[4:5]
	global_load_b32 v20, v0, s[2:3] scale_offset
	s_wait_xcnt 0x0
	s_load_b64 s[2:3], s[0:1], 0x40
	s_wait_kmcnt 0x0
	v_cmp_lt_i64_e64 s4, s[2:3], 1
	s_and_b32 vcc_lo, exec_lo, s4
	s_cbranch_vccz .LBB4_3
	s_branch .LBB4_6
.LBB4_2:
	v_mov_b32_e32 v20, 0
	s_load_b64 s[2:3], s[0:1], 0x40
	s_wait_kmcnt 0x0
	v_cmp_lt_i64_e64 s4, s[2:3], 1
	s_and_b32 vcc_lo, exec_lo, s4
	s_cbranch_vccnz .LBB4_6
.LBB4_3:
	s_clause 0x1
	s_load_b96 s[4:6], s[0:1], 0x1c
	s_load_b128 s[12:15], s[0:1], 0x0
	s_bfe_u32 s10, ttmp6, 0x4000c
	s_and_b32 s11, ttmp6, 15
	s_add_co_i32 s10, s10, 1
	s_delay_alu instid0(SALU_CYCLE_1) | instskip(NEXT) | instid1(SALU_CYCLE_1)
	s_mul_i32 s10, ttmp9, s10
	s_add_co_i32 s10, s11, s10
	s_wait_kmcnt 0x0
	s_ashr_i32 s11, s6, 31
	s_ashr_i32 s16, s6, 2
	s_cmp_eq_u32 s7, 0
	v_mul_lo_u32 v10, s16, v0
	s_cselect_b32 s16, ttmp9, s10
	s_ashr_i32 s7, s4, 2
	s_mov_b32 s10, s6
	v_mul_lo_u32 v12, s7, v0
	s_mul_u64 s[6:7], s[8:9], s[10:11]
	s_mul_i32 s10, s5, s16
	s_ashr_i32 s5, s4, 31
	s_ashr_i32 s11, s10, 31
	s_mul_u64 s[4:5], s[8:9], s[4:5]
	s_add_nc_u64 s[10:11], s[12:13], s[10:11]
	v_ashrrev_i32_e32 v11, 31, v10
	s_add_nc_u64 s[6:7], s[14:15], s[6:7]
	s_add_nc_u64 s[4:5], s[10:11], s[4:5]
	s_delay_alu instid0(VALU_DEP_2) | instskip(NEXT) | instid1(VALU_DEP_2)
	v_ashrrev_i32_e32 v13, 31, v12
	v_lshl_add_u64 v[18:19], v[10:11], 2, s[6:7]
	s_delay_alu instid0(VALU_DEP_2)
	v_lshl_add_u64 v[14:15], v[12:13], 2, s[4:5]
	global_load_b128 v[2:5], v[18:19], off
	s_clause 0x1
	global_load_b128 v[6:9], v[14:15], off
	global_load_b32 v17, v12, s[4:5] offset:16 scale_offset
	global_load_b32 v11, v10, s[6:7] offset:16 scale_offset
	s_wait_xcnt 0x0
	s_load_b96 s[4:6], s[0:1], 0x30
	s_wait_kmcnt 0x0
	s_mul_i32 s6, s6, s16
	s_load_b64 s[0:1], s[0:1], 0x28
	s_ashr_i32 s7, s6, 31
	s_ashr_i32 s11, s4, 31
	s_mov_b32 s10, s4
	s_cmp_eq_u64 s[2:3], 1
	s_mul_u64 s[10:11], s[8:9], s[10:11]
	s_wait_kmcnt 0x0
	s_add_nc_u64 s[0:1], s[0:1], s[6:7]
	s_mov_b32 s7, 0
	s_add_nc_u64 s[8:9], s[0:1], s[10:11]
	s_wait_loadcnt 0x3
	v_dual_mov_b32 v12, v3 :: v_dual_mov_b32 v13, v4
	s_wait_loadcnt 0x2
	v_dual_mov_b32 v18, v7 :: v_dual_mov_b32 v19, v8
	v_fma_f32 v1, v2, v6, 0
	v_dual_mov_b32 v10, v5 :: v_dual_mov_b32 v16, v9
	s_delay_alu instid0(VALU_DEP_3) | instskip(SKIP_1) | instid1(VALU_DEP_2)
	v_pk_mul_f32 v[18:19], v[12:13], v[18:19]
	s_wait_loadcnt 0x0
	v_pk_mul_f32 v[4:5], v[10:11], v[16:17]
	s_delay_alu instid0(VALU_DEP_2) | instskip(NEXT) | instid1(VALU_DEP_1)
	v_add_f32_e32 v1, v1, v18
	v_add_f32_e32 v1, v1, v19
	s_delay_alu instid0(VALU_DEP_1) | instskip(NEXT) | instid1(VALU_DEP_1)
	v_add_f32_e32 v1, v1, v4
	v_add_f32_e32 v1, v1, v5
	s_delay_alu instid0(VALU_DEP_1) | instskip(NEXT) | instid1(VALU_DEP_1)
	v_add_f32_e32 v1, v20, v1
	v_mul_f32_e32 v3, 0xbfb8aa3b, v1
	v_cmp_nlt_f32_e32 vcc_lo, 0x42ce8ed0, v1
	s_delay_alu instid0(VALU_DEP_2) | instskip(SKIP_1) | instid1(VALU_DEP_2)
	v_fma_f32 v4, 0xbfb8aa3b, v1, -v3
	v_rndne_f32_e32 v5, v3
	v_fmac_f32_e32 v4, 0xb2a5705f, v1
	s_delay_alu instid0(VALU_DEP_2) | instskip(NEXT) | instid1(VALU_DEP_1)
	v_sub_f32_e32 v3, v3, v5
	v_add_f32_e32 v3, v3, v4
	v_cvt_i32_f32_e32 v4, v5
	s_delay_alu instid0(VALU_DEP_2) | instskip(SKIP_1) | instid1(TRANS32_DEP_1)
	v_exp_f32_e32 v3, v3
	v_nop
	v_ldexp_f32 v3, v3, v4
	s_delay_alu instid0(VALU_DEP_1) | instskip(SKIP_1) | instid1(VALU_DEP_2)
	v_cndmask_b32_e32 v3, 0, v3, vcc_lo
	v_cmp_ngt_f32_e32 vcc_lo, 0xc2b17218, v1
	v_cndmask_b32_e32 v3, 0x7f800000, v3, vcc_lo
	s_delay_alu instid0(VALU_DEP_1) | instskip(NEXT) | instid1(VALU_DEP_1)
	v_add_f32_e32 v3, 1.0, v3
	v_div_scale_f32 v4, null, v3, v3, v1
	s_delay_alu instid0(VALU_DEP_1) | instskip(SKIP_1) | instid1(TRANS32_DEP_1)
	v_rcp_f32_e32 v5, v4
	v_nop
	v_fma_f32 v16, -v4, v5, 1.0
	s_delay_alu instid0(VALU_DEP_1) | instskip(SKIP_1) | instid1(VALU_DEP_1)
	v_fmac_f32_e32 v5, v16, v5
	v_div_scale_f32 v16, vcc_lo, v1, v3, v1
	v_mul_f32_e32 v18, v16, v5
	s_delay_alu instid0(VALU_DEP_1) | instskip(NEXT) | instid1(VALU_DEP_1)
	v_fma_f32 v19, -v4, v18, v16
	v_dual_fmac_f32 v18, v19, v5 :: v_dual_mov_b32 v19, 0
	s_delay_alu instid0(VALU_DEP_1) | instskip(NEXT) | instid1(VALU_DEP_1)
	v_fma_f32 v4, -v4, v18, v16
	v_div_fmas_f32 v4, v4, v5, v18
	s_delay_alu instid0(VALU_DEP_1)
	v_div_fixup_f32 v1, v4, v3, v1
	global_store_b32 v0, v1, s[8:9] scale_offset
	s_cbranch_scc1 .LBB4_6
; %bb.4:
	s_wait_xcnt 0x0
	s_ashr_i32 s8, s5, 2
	v_dual_mov_b32 v4, v17 :: v_dual_lshlrev_b32 v18, 2, v0
	s_ashr_i32 s9, s8, 31
	s_add_nc_u64 s[4:5], s[2:3], -1
	s_lshl_b64 s[8:9], s[8:9], 2
	v_add_nc_u64_e32 v[0:1], 20, v[14:15]
	s_add_nc_u64 s[2:3], s[10:11], s[8:9]
	s_mov_b64 s[10:11], 1
	s_add_nc_u64 s[0:1], s[0:1], s[2:3]
	s_mov_b64 s[12:13], 0xcccccccd
	v_add_nc_u64_e32 v[14:15], s[0:1], v[18:19]
	s_mov_b64 s[14:15], 0xffffffff
	s_mov_b64 s[16:17], 0xcccccccc
	;; [unrolled: 1-line block ×7, first 2 shown]
.LBB4_5:                                ; =>This Inner Loop Header: Depth=1
	global_load_b32 v3, v[0:1], off
	s_mov_b32 s6, s11
	s_and_b64 s[0:1], s[10:11], s[14:15]
	s_mov_b32 s34, s18
	s_mov_b32 s35, s7
	;; [unrolled: 1-line block ×4, first 2 shown]
	s_mul_u64 s[74:75], s[6:7], s[12:13]
	s_mul_u64 s[76:77], s[0:1], s[12:13]
	;; [unrolled: 1-line block ×3, first 2 shown]
	s_mov_b32 s6, s19
	s_mul_u64 s[80:81], s[34:35], s[12:13]
	s_mov_b32 s3, s7
	s_mov_b32 s37, s7
	;; [unrolled: 1-line block ×4, first 2 shown]
	s_mul_u64 s[82:83], s[42:43], s[12:13]
	s_mov_b32 s2, s77
	s_mul_u64 s[76:77], s[6:7], s[12:13]
	s_mov_b32 s36, s81
	s_mul_u64 s[80:81], s[6:7], s[16:17]
	s_mov_b32 s6, s21
	s_mov_b32 s45, s7
	s_mov_b32 s58, s24
	;; [unrolled: 1-line block ×3, first 2 shown]
	s_mul_u64 s[84:85], s[50:51], s[12:13]
	s_mov_b32 s44, s83
	s_add_nc_u64 s[2:3], s[74:75], s[2:3]
	s_add_nc_u64 s[36:37], s[76:77], s[36:37]
	s_mul_u64 s[74:75], s[6:7], s[12:13]
	s_mul_u64 s[76:77], s[6:7], s[16:17]
	s_mov_b32 s6, s23
	s_mov_b32 s53, s7
	;; [unrolled: 1-line block ×4, first 2 shown]
	s_mul_u64 s[0:1], s[0:1], s[16:17]
	s_mul_u64 s[34:35], s[34:35], s[16:17]
	;; [unrolled: 1-line block ×3, first 2 shown]
	s_mov_b32 s52, s85
	s_mov_b32 s28, s3
	;; [unrolled: 1-line block ×5, first 2 shown]
	s_add_nc_u64 s[44:45], s[74:75], s[44:45]
	s_mul_u64 s[74:75], s[6:7], s[12:13]
	s_mul_u64 s[82:83], s[6:7], s[16:17]
	s_mov_b32 s6, s25
	s_mov_b32 s61, s7
	s_mul_u64 s[42:43], s[42:43], s[16:17]
	s_mul_u64 s[88:89], s[66:67], s[12:13]
	s_mov_b32 s60, s87
	s_add_nc_u64 s[0:1], s[0:1], s[2:3]
	s_add_nc_u64 s[2:3], s[34:35], s[36:37]
	s_mov_b32 s46, s45
	s_mov_b32 s45, s7
	s_add_nc_u64 s[34:35], s[74:75], s[52:53]
	s_mul_u64 s[36:37], s[6:7], s[12:13]
	s_mul_u64 s[52:53], s[6:7], s[16:17]
	s_mov_b32 s6, s27
	s_mov_b32 s29, s7
	;; [unrolled: 1-line block ×6, first 2 shown]
	s_mul_u64 s[50:51], s[50:51], s[16:17]
	s_mov_b32 s68, s89
	s_mov_b32 s30, s1
	;; [unrolled: 1-line block ×3, first 2 shown]
	s_add_nc_u64 s[0:1], s[42:43], s[44:45]
	s_mov_b32 s54, s35
	s_mov_b32 s35, s7
	s_add_nc_u64 s[2:3], s[36:37], s[60:61]
	s_mul_u64 s[36:37], s[6:7], s[12:13]
	s_mov_b32 s47, s7
	s_mov_b32 s49, s7
	s_mul_u64 s[58:59], s[58:59], s[16:17]
	s_add_nc_u64 s[28:29], s[28:29], s[30:31]
	s_add_nc_u64 s[30:31], s[38:39], s[40:41]
	s_mov_b32 s48, s1
	s_add_nc_u64 s[0:1], s[50:51], s[34:35]
	s_mov_b32 s62, s3
	s_mov_b32 s3, s7
	s_add_nc_u64 s[34:35], s[36:37], s[68:69]
	s_mov_b32 s55, s7
	s_mov_b32 s57, s7
	s_mul_u64 s[66:67], s[66:67], s[16:17]
	s_add_nc_u64 s[28:29], s[78:79], s[28:29]
	s_add_nc_u64 s[30:31], s[80:81], s[30:31]
	;; [unrolled: 1-line block ×3, first 2 shown]
	s_mov_b32 s56, s1
	s_add_nc_u64 s[0:1], s[58:59], s[2:3]
	s_mov_b32 s70, s35
	s_mov_b32 s35, s7
	;; [unrolled: 1-line block ×4, first 2 shown]
	s_lshr_b64 s[2:3], s[28:29], 2
	s_lshr_b64 s[28:29], s[30:31], 2
	s_add_nc_u64 s[30:31], s[76:77], s[36:37]
	s_add_nc_u64 s[36:37], s[54:55], s[56:57]
	s_mov_b32 s64, s1
	s_add_nc_u64 s[0:1], s[66:67], s[34:35]
	s_mov_b32 s71, s7
	s_mov_b32 s73, s7
	s_mul_u64 s[42:43], s[6:7], s[16:17]
	s_mul_i32 s0, s2, 5
	s_mul_i32 s6, s28, 5
	s_lshr_b64 s[2:3], s[30:31], 2
	s_add_nc_u64 s[28:29], s[82:83], s[36:37]
	s_add_nc_u64 s[30:31], s[62:63], s[64:65]
	s_mov_b32 s72, s1
	s_sub_co_i32 s33, s10, s0
	s_mul_i32 s34, s2, 5
	s_lshr_b64 s[0:1], s[28:29], 2
	s_add_nc_u64 s[2:3], s[52:53], s[30:31]
	s_add_nc_u64 s[28:29], s[70:71], s[72:73]
	s_mul_i32 s31, s0, 5
	s_lshr_b64 s[0:1], s[2:3], 2
	s_add_nc_u64 s[2:3], s[42:43], s[28:29]
	s_mul_i32 s0, s0, 5
	s_lshr_b64 s[2:3], s[2:3], 2
	s_sub_co_i32 s6, s18, s6
	s_mul_i32 s1, s2, 5
	s_sub_co_i32 s30, s20, s34
	s_sub_co_i32 s3, s26, s1
	;; [unrolled: 1-line block ×4, first 2 shown]
	s_cmp_eq_u32 s3, 4
	s_wait_xcnt 0x0
	v_add_nc_u64_e32 v[0:1], 4, v[0:1]
	s_cselect_b32 vcc_lo, -1, 0
	s_cmp_eq_u32 s3, 3
	s_add_nc_u64 s[4:5], s[4:5], -1
	s_cselect_b32 s0, -1, 0
	s_cmp_eq_u32 s3, 2
	s_add_nc_u64 s[10:11], s[10:11], 1
	s_cselect_b32 s1, -1, 0
	s_cmp_eq_u32 s3, 1
	s_add_nc_u64 s[18:19], s[18:19], 1
	;; [unrolled: 3-line block ×4, first 2 shown]
	s_add_nc_u64 s[24:25], s[24:25], 1
	s_add_nc_u64 s[26:27], s[26:27], 1
	s_wait_loadcnt 0x0
	v_dual_cndmask_b32 v4, v4, v3, vcc_lo :: v_dual_cndmask_b32 v7, v7, v3, s2
	v_dual_cndmask_b32 v6, v6, v3, s3 :: v_dual_cndmask_b32 v9, v9, v3, s0
	s_cselect_b32 vcc_lo, -1, 0
	v_cndmask_b32_e64 v8, v8, v3, s1
	s_cmp_eq_u32 s33, 2
	s_delay_alu instid0(VALU_DEP_2) | instskip(SKIP_2) | instid1(VALU_DEP_1)
	v_cndmask_b32_e32 v3, v6, v7, vcc_lo
	s_cselect_b32 vcc_lo, -1, 0
	s_cmp_eq_u32 s33, 3
	v_cndmask_b32_e32 v3, v3, v8, vcc_lo
	s_cselect_b32 vcc_lo, -1, 0
	s_cmp_eq_u32 s33, 4
	s_delay_alu instid0(VALU_DEP_1)
	v_cndmask_b32_e32 v3, v3, v9, vcc_lo
	s_cselect_b32 vcc_lo, -1, 0
	s_cmp_eq_u32 s29, 1
	s_cselect_b32 s0, -1, 0
	s_cmp_eq_u32 s29, 2
	v_cndmask_b32_e64 v5, v6, v7, s0
	s_cselect_b32 s0, -1, 0
	s_cmp_eq_u32 s29, 3
	s_delay_alu instid0(VALU_DEP_1) | instskip(SKIP_3) | instid1(VALU_DEP_2)
	v_cndmask_b32_e64 v5, v5, v8, s0
	v_cndmask_b32_e32 v3, v3, v4, vcc_lo
	s_cselect_b32 vcc_lo, -1, 0
	s_cmp_eq_u32 s29, 4
	v_cndmask_b32_e32 v5, v5, v9, vcc_lo
	s_cselect_b32 vcc_lo, -1, 0
	s_cmp_eq_u32 s28, 1
	v_fma_f32 v3, v2, v3, 0
	s_cselect_b32 s0, -1, 0
	s_cmp_eq_u32 s28, 2
	v_dual_cndmask_b32 v17, v6, v7, s0 :: v_dual_cndmask_b32 v16, v5, v4, vcc_lo
	s_cselect_b32 s0, -1, 0
	s_cmp_eq_u32 s28, 3
	s_delay_alu instid0(VALU_DEP_1) | instskip(SKIP_2) | instid1(VALU_DEP_1)
	v_cndmask_b32_e64 v5, v17, v8, s0
	s_cselect_b32 vcc_lo, -1, 0
	s_cmp_eq_u32 s28, 4
	v_cndmask_b32_e32 v5, v5, v9, vcc_lo
	s_cselect_b32 vcc_lo, -1, 0
	s_cmp_eq_u32 s30, 1
	s_cselect_b32 s0, -1, 0
	s_cmp_eq_u32 s30, 2
	v_cndmask_b32_e64 v18, v6, v7, s0
	s_cselect_b32 s0, -1, 0
	v_cndmask_b32_e32 v17, v5, v4, vcc_lo
	s_cmp_eq_u32 s30, 3
	s_delay_alu instid0(VALU_DEP_2) | instskip(SKIP_2) | instid1(VALU_DEP_1)
	v_cndmask_b32_e64 v5, v18, v8, s0
	s_cselect_b32 vcc_lo, -1, 0
	s_cmp_eq_u32 s30, 4
	v_cndmask_b32_e32 v5, v5, v9, vcc_lo
	s_cselect_b32 vcc_lo, -1, 0
	s_cmp_eq_u32 s6, 1
	v_pk_mul_f32 v[16:17], v[12:13], v[16:17]
	s_cselect_b32 s0, -1, 0
	s_cmp_eq_u32 s6, 2
	v_cndmask_b32_e64 v18, v6, v7, s0
	s_cselect_b32 s0, -1, 0
	v_add_f32_e32 v3, v3, v16
	s_cmp_eq_u32 s6, 3
	s_delay_alu instid0(VALU_DEP_2) | instskip(SKIP_3) | instid1(VALU_DEP_2)
	v_cndmask_b32_e64 v16, v18, v8, s0
	v_cndmask_b32_e32 v18, v5, v4, vcc_lo
	s_cselect_b32 vcc_lo, -1, 0
	s_cmp_eq_u32 s6, 4
	v_cndmask_b32_e32 v5, v16, v9, vcc_lo
	s_cselect_b32 vcc_lo, -1, 0
	v_add_f32_e32 v3, v3, v17
	s_cmp_eq_u64 s[4:5], 0
	s_delay_alu instid0(VALU_DEP_2) | instskip(NEXT) | instid1(VALU_DEP_1)
	v_cndmask_b32_e32 v19, v5, v4, vcc_lo
	v_pk_mul_f32 v[16:17], v[10:11], v[18:19]
	s_delay_alu instid0(VALU_DEP_1) | instskip(NEXT) | instid1(VALU_DEP_1)
	v_add_f32_e32 v3, v3, v16
	v_add_f32_e32 v3, v3, v17
	s_delay_alu instid0(VALU_DEP_1) | instskip(NEXT) | instid1(VALU_DEP_1)
	v_add_f32_e32 v3, v20, v3
	v_mul_f32_e32 v5, 0xbfb8aa3b, v3
	v_cmp_nlt_f32_e32 vcc_lo, 0x42ce8ed0, v3
	s_delay_alu instid0(VALU_DEP_2) | instskip(SKIP_1) | instid1(VALU_DEP_1)
	v_fma_f32 v16, 0xbfb8aa3b, v3, -v5
	v_rndne_f32_e32 v17, v5
	v_dual_fmac_f32 v16, 0xb2a5705f, v3 :: v_dual_sub_f32 v5, v5, v17
	s_delay_alu instid0(VALU_DEP_1) | instskip(SKIP_1) | instid1(VALU_DEP_2)
	v_add_f32_e32 v5, v5, v16
	v_cvt_i32_f32_e32 v16, v17
	v_exp_f32_e32 v5, v5
	v_nop
	s_delay_alu instid0(TRANS32_DEP_1) | instskip(NEXT) | instid1(VALU_DEP_1)
	v_ldexp_f32 v5, v5, v16
	v_cndmask_b32_e32 v5, 0, v5, vcc_lo
	v_cmp_ngt_f32_e32 vcc_lo, 0xc2b17218, v3
	s_delay_alu instid0(VALU_DEP_2) | instskip(NEXT) | instid1(VALU_DEP_1)
	v_cndmask_b32_e32 v5, 0x7f800000, v5, vcc_lo
	v_add_f32_e32 v5, 1.0, v5
	s_delay_alu instid0(VALU_DEP_1) | instskip(SKIP_1) | instid1(VALU_DEP_2)
	v_div_scale_f32 v16, null, v5, v5, v3
	v_div_scale_f32 v19, vcc_lo, v3, v5, v3
	v_rcp_f32_e32 v17, v16
	v_nop
	s_delay_alu instid0(TRANS32_DEP_1) | instskip(NEXT) | instid1(VALU_DEP_1)
	v_fma_f32 v18, -v16, v17, 1.0
	v_fmac_f32_e32 v17, v18, v17
	s_delay_alu instid0(VALU_DEP_1) | instskip(NEXT) | instid1(VALU_DEP_1)
	v_mul_f32_e32 v18, v19, v17
	v_fma_f32 v21, -v16, v18, v19
	s_delay_alu instid0(VALU_DEP_1) | instskip(NEXT) | instid1(VALU_DEP_1)
	v_fmac_f32_e32 v18, v21, v17
	v_fma_f32 v16, -v16, v18, v19
	s_delay_alu instid0(VALU_DEP_1) | instskip(NEXT) | instid1(VALU_DEP_1)
	v_div_fmas_f32 v16, v16, v17, v18
	v_div_fixup_f32 v3, v16, v5, v3
	global_store_b32 v[14:15], v3, off
	s_wait_xcnt 0x0
	v_add_nc_u64_e32 v[14:15], s[8:9], v[14:15]
	s_cbranch_scc0 .LBB4_5
.LBB4_6:
	s_endpgm
	.section	.rodata,"a",@progbits
	.p2align	6, 0x0
	.amdhsa_kernel _ZL12ssm_conv_f32ILb1ELm128ELm5EEvPKfS1_S1_iiiiPfiiil
		.amdhsa_group_segment_fixed_size 0
		.amdhsa_private_segment_fixed_size 0
		.amdhsa_kernarg_size 72
		.amdhsa_user_sgpr_count 2
		.amdhsa_user_sgpr_dispatch_ptr 0
		.amdhsa_user_sgpr_queue_ptr 0
		.amdhsa_user_sgpr_kernarg_segment_ptr 1
		.amdhsa_user_sgpr_dispatch_id 0
		.amdhsa_user_sgpr_kernarg_preload_length 0
		.amdhsa_user_sgpr_kernarg_preload_offset 0
		.amdhsa_user_sgpr_private_segment_size 0
		.amdhsa_wavefront_size32 1
		.amdhsa_uses_dynamic_stack 0
		.amdhsa_enable_private_segment 0
		.amdhsa_system_sgpr_workgroup_id_x 1
		.amdhsa_system_sgpr_workgroup_id_y 1
		.amdhsa_system_sgpr_workgroup_id_z 0
		.amdhsa_system_sgpr_workgroup_info 0
		.amdhsa_system_vgpr_workitem_id 0
		.amdhsa_next_free_vgpr 22
		.amdhsa_next_free_sgpr 90
		.amdhsa_named_barrier_count 0
		.amdhsa_reserve_vcc 1
		.amdhsa_float_round_mode_32 0
		.amdhsa_float_round_mode_16_64 0
		.amdhsa_float_denorm_mode_32 3
		.amdhsa_float_denorm_mode_16_64 3
		.amdhsa_fp16_overflow 0
		.amdhsa_memory_ordered 1
		.amdhsa_forward_progress 1
		.amdhsa_inst_pref_size 17
		.amdhsa_round_robin_scheduling 0
		.amdhsa_exception_fp_ieee_invalid_op 0
		.amdhsa_exception_fp_denorm_src 0
		.amdhsa_exception_fp_ieee_div_zero 0
		.amdhsa_exception_fp_ieee_overflow 0
		.amdhsa_exception_fp_ieee_underflow 0
		.amdhsa_exception_fp_ieee_inexact 0
		.amdhsa_exception_int_div_zero 0
	.end_amdhsa_kernel
	.section	.text._ZL12ssm_conv_f32ILb1ELm128ELm5EEvPKfS1_S1_iiiiPfiiil,"axG",@progbits,_ZL12ssm_conv_f32ILb1ELm128ELm5EEvPKfS1_S1_iiiiPfiiil,comdat
.Lfunc_end4:
	.size	_ZL12ssm_conv_f32ILb1ELm128ELm5EEvPKfS1_S1_iiiiPfiiil, .Lfunc_end4-_ZL12ssm_conv_f32ILb1ELm128ELm5EEvPKfS1_S1_iiiiPfiiil
                                        ; -- End function
	.set _ZL12ssm_conv_f32ILb1ELm128ELm5EEvPKfS1_S1_iiiiPfiiil.num_vgpr, 22
	.set _ZL12ssm_conv_f32ILb1ELm128ELm5EEvPKfS1_S1_iiiiPfiiil.num_agpr, 0
	.set _ZL12ssm_conv_f32ILb1ELm128ELm5EEvPKfS1_S1_iiiiPfiiil.numbered_sgpr, 90
	.set _ZL12ssm_conv_f32ILb1ELm128ELm5EEvPKfS1_S1_iiiiPfiiil.num_named_barrier, 0
	.set _ZL12ssm_conv_f32ILb1ELm128ELm5EEvPKfS1_S1_iiiiPfiiil.private_seg_size, 0
	.set _ZL12ssm_conv_f32ILb1ELm128ELm5EEvPKfS1_S1_iiiiPfiiil.uses_vcc, 1
	.set _ZL12ssm_conv_f32ILb1ELm128ELm5EEvPKfS1_S1_iiiiPfiiil.uses_flat_scratch, 0
	.set _ZL12ssm_conv_f32ILb1ELm128ELm5EEvPKfS1_S1_iiiiPfiiil.has_dyn_sized_stack, 0
	.set _ZL12ssm_conv_f32ILb1ELm128ELm5EEvPKfS1_S1_iiiiPfiiil.has_recursion, 0
	.set _ZL12ssm_conv_f32ILb1ELm128ELm5EEvPKfS1_S1_iiiiPfiiil.has_indirect_call, 0
	.section	.AMDGPU.csdata,"",@progbits
; Kernel info:
; codeLenInByte = 2076
; TotalNumSgprs: 92
; NumVgprs: 22
; ScratchSize: 0
; MemoryBound: 0
; FloatMode: 240
; IeeeMode: 1
; LDSByteSize: 0 bytes/workgroup (compile time only)
; SGPRBlocks: 0
; VGPRBlocks: 1
; NumSGPRsForWavesPerEU: 92
; NumVGPRsForWavesPerEU: 22
; NamedBarCnt: 0
; Occupancy: 16
; WaveLimiterHint : 0
; COMPUTE_PGM_RSRC2:SCRATCH_EN: 0
; COMPUTE_PGM_RSRC2:USER_SGPR: 2
; COMPUTE_PGM_RSRC2:TRAP_HANDLER: 0
; COMPUTE_PGM_RSRC2:TGID_X_EN: 1
; COMPUTE_PGM_RSRC2:TGID_Y_EN: 1
; COMPUTE_PGM_RSRC2:TGID_Z_EN: 0
; COMPUTE_PGM_RSRC2:TIDIG_COMP_CNT: 0
	.section	.text._ZL23ssm_conv_long_token_f32ILb1ELm128ELm5ELl32EEvPKfS1_S1_iiiiPfiiil,"axG",@progbits,_ZL23ssm_conv_long_token_f32ILb1ELm128ELm5ELl32EEvPKfS1_S1_iiiiPfiiil,comdat
	.globl	_ZL23ssm_conv_long_token_f32ILb1ELm128ELm5ELl32EEvPKfS1_S1_iiiiPfiiil ; -- Begin function _ZL23ssm_conv_long_token_f32ILb1ELm128ELm5ELl32EEvPKfS1_S1_iiiiPfiiil
	.p2align	8
	.type	_ZL23ssm_conv_long_token_f32ILb1ELm128ELm5ELl32EEvPKfS1_S1_iiiiPfiiil,@function
_ZL23ssm_conv_long_token_f32ILb1ELm128ELm5ELl32EEvPKfS1_S1_iiiiPfiiil: ; @_ZL23ssm_conv_long_token_f32ILb1ELm128ELm5ELl32EEvPKfS1_S1_iiiiPfiiil
; %bb.0:
	v_mul_u32_u24_e32 v1, 0x71d, v0
	s_bfe_u32 s3, ttmp6, 0x40010
	s_and_b32 s2, ttmp7, 0xffff
	s_add_co_i32 s5, s3, 1
	s_bfe_u32 s4, ttmp6, 0x40004
	v_lshrrev_b32_e32 v3, 16, v1
	s_mul_i32 s5, s2, s5
	s_getreg_b32 s8, hwreg(HW_REG_IB_STS2, 6, 4)
	s_add_co_i32 s9, s4, s5
	s_cmp_eq_u32 s8, 0
	v_mul_lo_u16 v1, v3, 36
	s_clause 0x1
	s_load_b64 s[10:11], s[0:1], 0x0
	s_load_b128 s[4:7], s[0:1], 0x18
	s_cselect_b32 s2, s2, s9
	s_bfe_u32 s12, ttmp6, 0x40014
	s_lshr_b32 s9, ttmp7, 16
	v_sub_nc_u16 v16, v0, v1
	s_add_co_i32 s12, s12, 1
	s_bfe_u32 s14, ttmp6, 0x40008
	s_mul_i32 s12, s9, s12
	s_mov_b32 s3, 0
	v_or_b32_e32 v1, 0x80, v16
	s_add_co_i32 s14, s14, s12
	s_cmp_eq_u32 s8, 0
	v_and_b32_e32 v16, 0xffff, v16
	s_cselect_b32 s9, s9, s14
	v_mul_lo_u16 v2, v1, 57
	s_bfe_u32 s12, ttmp6, 0x4000c
	s_and_b32 s15, ttmp6, 15
	s_add_co_i32 s12, s12, 1
	s_mov_b32 s13, s3
	v_lshrrev_b16 v17, 11, v2
	s_mul_i32 s12, ttmp9, s12
	s_wait_kmcnt 0x0
	s_mov_b32 s18, s4
	s_add_co_i32 s15, s15, s12
	s_cmp_eq_u32 s8, 0
	v_mul_lo_u16 v2, v17, 36
	v_and_b32_e32 v17, 0xffff, v17
	s_cselect_b32 s16, ttmp9, s15
	s_ashr_i32 s8, s5, 2
	s_ashr_i32 s19, s4, 31
	v_sub_nc_u16 v1, v1, v2
	s_mul_i32 s4, s6, s16
	s_mov_b32 s14, s5
	s_lshl_b32 s2, s2, 7
	s_ashr_i32 s15, s5, 31
	v_and_b32_e32 v1, 0xff, v1
	s_ashr_i32 s5, s4, 31
	s_lshl_b32 s12, s9, 5
	s_mul_u64 s[14:15], s[2:3], s[14:15]
	s_add_nc_u64 s[4:5], s[10:11], s[4:5]
	v_or_b32_e32 v2, 0x80, v1
	s_mul_u64 s[18:19], s[12:13], s[18:19]
	s_add_nc_u64 s[4:5], s[4:5], s[14:15]
	s_mov_b32 s6, exec_lo
	s_add_nc_u64 s[4:5], s[4:5], s[18:19]
	v_mul_lo_u16 v4, v2, 57
	s_delay_alu instid0(VALU_DEP_1) | instskip(NEXT) | instid1(VALU_DEP_1)
	v_lshrrev_b16 v18, 11, v4
	v_mul_lo_u16 v4, v18, 36
	v_and_b32_e32 v18, 0xffff, v18
	s_delay_alu instid0(VALU_DEP_2) | instskip(NEXT) | instid1(VALU_DEP_1)
	v_sub_nc_u16 v2, v2, v4
	v_and_b32_e32 v2, 0xff, v2
	s_delay_alu instid0(VALU_DEP_1) | instskip(NEXT) | instid1(VALU_DEP_1)
	v_or_b32_e32 v4, 0x80, v2
	v_mul_lo_u16 v5, v4, 57
	s_delay_alu instid0(VALU_DEP_1) | instskip(NEXT) | instid1(VALU_DEP_1)
	v_lshrrev_b16 v19, 11, v5
	v_mul_lo_u16 v5, v19, 36
	v_and_b32_e32 v19, 0xffff, v19
	v_add_nc_u32_e32 v17, v3, v17
	s_delay_alu instid0(VALU_DEP_3) | instskip(NEXT) | instid1(VALU_DEP_2)
	v_sub_nc_u16 v4, v4, v5
	v_add_nc_u32_e32 v18, v17, v18
	v_mad_u32 v37, s8, v3, v16
	v_mul_u32_u24_e32 v3, 0x90, v3
	s_delay_alu instid0(VALU_DEP_4) | instskip(NEXT) | instid1(VALU_DEP_4)
	v_and_b32_e32 v4, 0xff, v4
	v_dual_lshlrev_b32 v16, 2, v16 :: v_dual_add_nc_u32 v19, v18, v19
	v_mad_u32 v38, v17, s8, v1
	v_mad_u32 v40, v18, s8, v2
	s_delay_alu instid0(VALU_DEP_4)
	v_or_b32_e32 v5, 0x80, v4
	s_clause 0x1
	global_load_b32 v43, v37, s[4:5] scale_offset
	global_load_b32 v44, v38, s[4:5] scale_offset
	v_mul_lo_u16 v6, v5, 57
	v_mad_u32 v41, v19, s8, v4
	v_dual_lshlrev_b32 v2, 2, v2 :: v_dual_lshlrev_b32 v4, 2, v4
	v_add3_u32 v3, 0, v3, v16
	s_delay_alu instid0(VALU_DEP_4) | instskip(SKIP_1) | instid1(VALU_DEP_2)
	v_lshrrev_b16 v20, 11, v6
	v_lshlrev_b32_e32 v1, 2, v1
	v_mul_lo_u16 v6, v20, 36
	v_and_b32_e32 v20, 0xffff, v20
	s_delay_alu instid0(VALU_DEP_2) | instskip(NEXT) | instid1(VALU_DEP_1)
	v_sub_nc_u16 v5, v5, v6
	v_and_b32_e32 v5, 0xff, v5
	s_delay_alu instid0(VALU_DEP_1) | instskip(NEXT) | instid1(VALU_DEP_1)
	v_or_b32_e32 v6, 0x80, v5
	v_mul_lo_u16 v7, v6, 57
	s_delay_alu instid0(VALU_DEP_1) | instskip(NEXT) | instid1(VALU_DEP_1)
	v_lshrrev_b16 v21, 11, v7
	v_mul_lo_u16 v7, v21, 36
	v_and_b32_e32 v21, 0xffff, v21
	s_delay_alu instid0(VALU_DEP_2) | instskip(NEXT) | instid1(VALU_DEP_1)
	v_sub_nc_u16 v6, v6, v7
	v_and_b32_e32 v6, 0xff, v6
	s_delay_alu instid0(VALU_DEP_1) | instskip(NEXT) | instid1(VALU_DEP_1)
	v_or_b32_e32 v7, 0x80, v6
	v_mul_lo_u16 v8, v7, 57
	s_delay_alu instid0(VALU_DEP_1) | instskip(NEXT) | instid1(VALU_DEP_1)
	v_lshrrev_b16 v22, 11, v8
	v_mul_lo_u16 v8, v22, 36
	v_and_b32_e32 v22, 0xffff, v22
	v_add_nc_u32_e32 v20, v19, v20
	s_delay_alu instid0(VALU_DEP_3) | instskip(NEXT) | instid1(VALU_DEP_1)
	v_sub_nc_u16 v7, v7, v8
	v_and_b32_e32 v7, 0xff, v7
	s_delay_alu instid0(VALU_DEP_1) | instskip(NEXT) | instid1(VALU_DEP_1)
	v_or_b32_e32 v8, 0x80, v7
	v_mul_lo_u16 v9, v8, 57
	s_delay_alu instid0(VALU_DEP_1) | instskip(NEXT) | instid1(VALU_DEP_1)
	v_lshrrev_b16 v23, 11, v9
	v_mul_lo_u16 v9, v23, 36
	v_and_b32_e32 v23, 0xffff, v23
	v_add_nc_u32_e32 v21, v20, v21
	s_delay_alu instid0(VALU_DEP_3) | instskip(NEXT) | instid1(VALU_DEP_2)
	v_sub_nc_u16 v8, v8, v9
	v_add_nc_u32_e32 v22, v21, v22
	s_delay_alu instid0(VALU_DEP_2) | instskip(NEXT) | instid1(VALU_DEP_2)
	v_and_b32_e32 v8, 0xff, v8
	v_add_nc_u32_e32 v23, v22, v23
	v_mad_u32 v42, v21, s8, v6
	v_lshlrev_b32_e32 v6, 2, v6
	s_delay_alu instid0(VALU_DEP_4) | instskip(NEXT) | instid1(VALU_DEP_1)
	v_or_b32_e32 v9, 0x80, v8
	v_mul_lo_u16 v10, v9, 57
	s_delay_alu instid0(VALU_DEP_1) | instskip(NEXT) | instid1(VALU_DEP_1)
	v_lshrrev_b16 v24, 11, v10
	v_mul_lo_u16 v10, v24, 36
	v_and_b32_e32 v24, 0xffff, v24
	s_delay_alu instid0(VALU_DEP_2) | instskip(NEXT) | instid1(VALU_DEP_1)
	v_sub_nc_u16 v9, v9, v10
	v_and_b32_e32 v9, 0xff, v9
	s_delay_alu instid0(VALU_DEP_1) | instskip(NEXT) | instid1(VALU_DEP_1)
	v_or_b32_e32 v10, 0x80, v9
	v_mul_lo_u16 v11, v10, 57
	s_delay_alu instid0(VALU_DEP_1) | instskip(NEXT) | instid1(VALU_DEP_1)
	v_lshrrev_b16 v25, 11, v11
	v_mul_lo_u16 v11, v25, 36
	v_and_b32_e32 v25, 0xffff, v25
	s_delay_alu instid0(VALU_DEP_2) | instskip(NEXT) | instid1(VALU_DEP_1)
	v_sub_nc_u16 v10, v10, v11
	v_and_b32_e32 v10, 0xff, v10
	s_delay_alu instid0(VALU_DEP_1) | instskip(NEXT) | instid1(VALU_DEP_1)
	v_or_b32_e32 v11, 0x80, v10
	v_mul_lo_u16 v12, v11, 57
	s_delay_alu instid0(VALU_DEP_1) | instskip(NEXT) | instid1(VALU_DEP_1)
	v_lshrrev_b16 v26, 11, v12
	v_mul_lo_u16 v12, v26, 36
	v_and_b32_e32 v26, 0xffff, v26
	v_add_nc_u32_e32 v24, v23, v24
	s_delay_alu instid0(VALU_DEP_3) | instskip(NEXT) | instid1(VALU_DEP_1)
	v_sub_nc_u16 v11, v11, v12
	v_and_b32_e32 v11, 0xff, v11
	s_delay_alu instid0(VALU_DEP_1) | instskip(NEXT) | instid1(VALU_DEP_1)
	v_or_b32_e32 v12, 0x80, v11
	v_mul_lo_u16 v13, v12, 57
	s_delay_alu instid0(VALU_DEP_1) | instskip(NEXT) | instid1(VALU_DEP_1)
	v_lshrrev_b16 v27, 11, v13
	v_mul_lo_u16 v13, v27, 36
	v_and_b32_e32 v27, 0xffff, v27
	v_add_nc_u32_e32 v25, v24, v25
	s_delay_alu instid0(VALU_DEP_3) | instskip(NEXT) | instid1(VALU_DEP_2)
	v_sub_nc_u16 v12, v12, v13
	v_add_nc_u32_e32 v26, v25, v26
	s_delay_alu instid0(VALU_DEP_2) | instskip(NEXT) | instid1(VALU_DEP_2)
	v_and_b32_e32 v12, 0xff, v12
	v_add_nc_u32_e32 v27, v26, v27
	v_mad_u32 v48, v25, s8, v10
	v_mad_u32 v49, v26, s8, v11
	s_delay_alu instid0(VALU_DEP_4) | instskip(NEXT) | instid1(VALU_DEP_4)
	v_or_b32_e32 v13, 0x80, v12
	v_mad_u32 v51, v27, s8, v12
	s_delay_alu instid0(VALU_DEP_2) | instskip(NEXT) | instid1(VALU_DEP_1)
	v_mul_lo_u16 v14, v13, 57
	v_lshrrev_b16 v28, 11, v14
	s_delay_alu instid0(VALU_DEP_1) | instskip(SKIP_1) | instid1(VALU_DEP_2)
	v_mul_lo_u16 v14, v28, 36
	v_and_b32_e32 v28, 0xffff, v28
	v_sub_nc_u16 v13, v13, v14
	s_delay_alu instid0(VALU_DEP_1) | instskip(NEXT) | instid1(VALU_DEP_1)
	v_and_b32_e32 v13, 0xff, v13
	v_or_b32_e32 v14, 0x80, v13
	s_delay_alu instid0(VALU_DEP_1) | instskip(NEXT) | instid1(VALU_DEP_1)
	v_mul_lo_u16 v15, v14, 57
	v_lshrrev_b16 v29, 11, v15
	s_delay_alu instid0(VALU_DEP_1) | instskip(SKIP_1) | instid1(VALU_DEP_2)
	v_mul_lo_u16 v15, v29, 36
	v_and_b32_e32 v29, 0xffff, v29
	v_sub_nc_u16 v14, v14, v15
	s_delay_alu instid0(VALU_DEP_1) | instskip(NEXT) | instid1(VALU_DEP_1)
	v_and_b32_e32 v14, 0xff, v14
	v_or_b32_e32 v15, 0x80, v14
	s_delay_alu instid0(VALU_DEP_1) | instskip(NEXT) | instid1(VALU_DEP_1)
	v_mul_lo_u16 v30, v15, 57
	v_lshrrev_b16 v30, 11, v30
	s_delay_alu instid0(VALU_DEP_1) | instskip(SKIP_2) | instid1(VALU_DEP_3)
	v_mul_lo_u16 v31, v30, 36
	v_and_b32_e32 v30, 0xffff, v30
	v_add_nc_u32_e32 v28, v27, v28
	v_sub_nc_u16 v15, v15, v31
	s_delay_alu instid0(VALU_DEP_1) | instskip(NEXT) | instid1(VALU_DEP_1)
	v_and_b32_e32 v15, 0xff, v15
	v_or_b32_e32 v31, 0x80, v15
	s_delay_alu instid0(VALU_DEP_1) | instskip(NEXT) | instid1(VALU_DEP_1)
	v_mul_lo_u16 v32, v31, 57
	v_lshrrev_b16 v32, 11, v32
	s_delay_alu instid0(VALU_DEP_1) | instskip(SKIP_2) | instid1(VALU_DEP_3)
	v_mul_lo_u16 v33, v32, 36
	v_and_b32_e32 v32, 0xffff, v32
	v_add_nc_u32_e32 v29, v28, v29
	v_sub_nc_u16 v31, v31, v33
	s_delay_alu instid0(VALU_DEP_2) | instskip(NEXT) | instid1(VALU_DEP_2)
	v_add_nc_u32_e32 v30, v29, v30
	v_and_b32_e32 v31, 0xff, v31
	s_delay_alu instid0(VALU_DEP_2) | instskip(NEXT) | instid1(VALU_DEP_2)
	v_add_nc_u32_e32 v32, v30, v32
	v_or_b32_e32 v33, 0x80, v31
	s_delay_alu instid0(VALU_DEP_2) | instskip(NEXT) | instid1(VALU_DEP_2)
	v_mad_u32 v56, v32, s8, v31
	v_mul_lo_u16 v34, v33, 57
	s_delay_alu instid0(VALU_DEP_1) | instskip(NEXT) | instid1(VALU_DEP_1)
	v_lshrrev_b16 v34, 11, v34
	v_mul_lo_u16 v35, v34, 36
	v_and_b32_e32 v34, 0xffff, v34
	s_delay_alu instid0(VALU_DEP_2) | instskip(NEXT) | instid1(VALU_DEP_2)
	v_sub_nc_u16 v33, v33, v35
	v_add_nc_u32_e32 v34, v32, v34
	s_delay_alu instid0(VALU_DEP_2) | instskip(NEXT) | instid1(VALU_DEP_1)
	v_and_b32_e32 v33, 0xff, v33
	v_or_b32_e32 v35, 0x80, v33
	s_delay_alu instid0(VALU_DEP_3) | instskip(NEXT) | instid1(VALU_DEP_2)
	v_mad_u32 v16, v34, s8, v33
	v_mul_lo_u16 v36, v35, 57
	s_delay_alu instid0(VALU_DEP_1) | instskip(NEXT) | instid1(VALU_DEP_1)
	v_lshrrev_b16 v36, 11, v36
	v_mul_lo_u16 v39, v36, 36
	v_and_b32_e32 v36, 0xffff, v36
	s_delay_alu instid0(VALU_DEP_2)
	v_sub_nc_u16 v35, v35, v39
	v_mad_u32 v39, v20, s8, v5
	s_clause 0x3
	global_load_b32 v38, v40, s[4:5] scale_offset
	global_load_b32 v45, v41, s[4:5] scale_offset
	;; [unrolled: 1-line block ×4, first 2 shown]
	v_and_b32_e32 v35, 0xff, v35
	s_wait_xcnt 0x3
	v_mad_u32 v40, v22, s8, v7
	s_wait_xcnt 0x2
	v_mad_u32 v41, v23, s8, v8
	;; [unrolled: 2-line block ×3, first 2 shown]
	v_lshlrev_b32_e32 v5, 2, v5
	v_or_b32_e32 v37, 0x80, v35
	s_delay_alu instid0(VALU_DEP_1) | instskip(NEXT) | instid1(VALU_DEP_1)
	v_mul_lo_u16 v39, v37, 57
	v_lshrrev_b16 v39, 11, v39
	s_delay_alu instid0(VALU_DEP_1) | instskip(SKIP_1) | instid1(VALU_DEP_2)
	v_mul_lo_u16 v50, v39, 36
	v_and_b32_e32 v39, 0xffff, v39
	v_sub_nc_u16 v37, v37, v50
	s_clause 0x5
	global_load_b32 v50, v40, s[4:5] scale_offset
	global_load_b32 v52, v41, s[4:5] scale_offset
	;; [unrolled: 1-line block ×6, first 2 shown]
	s_wait_xcnt 0x3
	v_mad_u32 v42, v28, s8, v13
	s_wait_xcnt 0x1
	v_mad_u32 v49, v29, s8, v14
	v_and_b32_e32 v37, 0xff, v37
	s_wait_xcnt 0x0
	v_mad_u32 v51, v30, s8, v15
	s_clause 0x3
	global_load_b32 v58, v42, s[4:5] scale_offset
	global_load_b32 v59, v49, s[4:5] scale_offset
	;; [unrolled: 1-line block ×4, first 2 shown]
	v_or_b32_e32 v48, 0x80, v37
	s_delay_alu instid0(VALU_DEP_1) | instskip(NEXT) | instid1(VALU_DEP_1)
	v_mul_lo_u16 v55, v48, 57
	v_lshrrev_b16 v55, 11, v55
	s_delay_alu instid0(VALU_DEP_1) | instskip(SKIP_3) | instid1(VALU_DEP_3)
	v_mul_lo_u16 v57, v55, 36
	s_wait_xcnt 0x3
	v_and_b32_e32 v42, 0xffff, v55
	v_add_nc_u32_e32 v36, v34, v36
	v_sub_nc_u16 v48, v48, v57
	s_delay_alu instid0(VALU_DEP_2) | instskip(NEXT) | instid1(VALU_DEP_2)
	v_add_nc_u32_e32 v39, v36, v39
	v_and_b32_e32 v48, 0xff, v48
	s_delay_alu instid0(VALU_DEP_2)
	v_add_nc_u32_e32 v42, v39, v42
	s_wait_xcnt 0x2
	v_mad_u32 v49, v36, s8, v35
	s_wait_xcnt 0x1
	v_mad_u32 v51, v39, s8, v37
	v_mad_u32 v55, v42, s8, v48
	s_clause 0x3
	global_load_b32 v56, v16, s[4:5] scale_offset
	global_load_b32 v57, v49, s[4:5] scale_offset
	global_load_b32 v62, v51, s[4:5] scale_offset
	global_load_b32 v63, v55, s[4:5] scale_offset
	s_wait_xcnt 0x3
	v_mul_u32_u24_e32 v16, 0x90, v17
	s_wait_loadcnt 0x13
	ds_store_b32 v3, v43
	v_mul_u32_u24_e32 v3, 0x90, v19
	v_add3_u32 v1, 0, v16, v1
	v_mul_u32_u24_e32 v16, 0x90, v18
	s_delay_alu instid0(VALU_DEP_3)
	v_add3_u32 v3, 0, v3, v4
	v_mul_u32_u24_e32 v4, 0x90, v21
	s_wait_loadcnt 0x12
	ds_store_b32 v1, v44
	v_add3_u32 v1, 0, v16, v2
	v_mul_u32_u24_e32 v2, 0x90, v20
	s_wait_loadcnt 0x11
	ds_store_b32 v1, v38
	v_add3_u32 v1, 0, v2, v5
	v_mul_lo_u32 v2, 0x90, v22
	s_wait_loadcnt 0x10
	ds_store_b32 v3, v45
	v_add3_u32 v3, 0, v4, v6
	v_mul_lo_u32 v4, 0x90, v23
	v_mul_lo_u32 v5, 0x90, v24
	;; [unrolled: 1-line block ×3, first 2 shown]
	s_wait_loadcnt 0xf
	ds_store_b32 v1, v46
	v_lshlrev_b32_e32 v1, 2, v7
	s_wait_loadcnt 0xe
	ds_store_b32 v3, v47
	v_dual_lshlrev_b32 v3, 2, v8 :: v_dual_lshlrev_b32 v7, 2, v9
	v_mul_lo_u32 v8, 0x90, v26
	v_add3_u32 v1, 0, v2, v1
	v_lshlrev_b32_e32 v2, 2, v10
	s_delay_alu instid0(VALU_DEP_4)
	v_add3_u32 v3, 0, v4, v3
	v_add3_u32 v4, 0, v5, v7
	v_mul_lo_u32 v5, 0x90, v27
	v_dual_lshlrev_b32 v9, 2, v37 :: v_dual_lshlrev_b32 v7, 2, v14
	v_lshlrev_b32_e32 v10, 2, v48
	s_wait_loadcnt 0xd
	ds_store_b32 v1, v50
	v_add3_u32 v1, 0, v6, v2
	v_lshlrev_b32_e32 v2, 2, v11
	s_wait_loadcnt 0xc
	ds_store_b32 v3, v52
	s_wait_loadcnt 0xb
	ds_store_b32 v4, v40
	v_lshlrev_b32_e32 v3, 2, v12
	v_mul_lo_u32 v4, 0x90, v29
	s_wait_loadcnt 0xa
	ds_store_b32 v1, v41
	v_add3_u32 v1, 0, v8, v2
	v_mul_lo_u32 v2, 0x90, v28
	v_add3_u32 v3, 0, v5, v3
	v_mul_lo_u32 v5, 0x90, v30
	v_mul_lo_u32 v6, 0x90, v32
	s_wait_loadcnt 0x9
	ds_store_b32 v1, v53
	v_lshlrev_b32_e32 v1, 2, v13
	s_wait_loadcnt 0x8
	ds_store_b32 v3, v54
	v_lshlrev_b32_e32 v3, 2, v15
	v_lshlrev_b32_e32 v8, 2, v31
	v_add3_u32 v1, 0, v2, v1
	v_add3_u32 v2, 0, v4, v7
	v_or_b32_e32 v4, 0x80, v48
	v_add3_u32 v3, 0, v5, v3
	v_add3_u32 v5, 0, v6, v8
	v_mul_lo_u32 v6, 0x90, v34
	s_wait_loadcnt 0x7
	ds_store_b32 v1, v58
	v_mul_lo_u16 v1, v4, 57
	s_wait_loadcnt 0x6
	ds_store_b32 v2, v59
	s_wait_loadcnt 0x5
	ds_store_b32 v3, v60
	;; [unrolled: 2-line block ×3, first 2 shown]
	v_lshlrev_b32_e32 v2, 2, v33
	v_mul_lo_u32 v3, 0x90, v36
	v_mul_lo_u32 v5, 0x90, v39
	v_lshrrev_b16 v1, 11, v1
	v_mul_lo_u32 v7, 0x90, v42
	v_lshlrev_b32_e32 v8, 2, v35
	v_add3_u32 v6, 0, v6, v2
	s_delay_alu instid0(VALU_DEP_4) | instskip(SKIP_1) | instid1(VALU_DEP_4)
	v_mul_lo_u16 v2, v1, 36
	v_and_b32_e32 v1, 0xffff, v1
	v_add3_u32 v3, 0, v3, v8
	s_delay_alu instid0(VALU_DEP_3) | instskip(NEXT) | instid1(VALU_DEP_3)
	v_sub_nc_u16 v2, v4, v2
	v_add_nc_u32_e32 v1, v42, v1
	v_add3_u32 v4, 0, v5, v9
	v_add3_u32 v5, 0, v7, v10
	s_wait_loadcnt 0x3
	ds_store_b32 v6, v56
	s_wait_loadcnt 0x2
	ds_store_b32 v3, v57
	;; [unrolled: 2-line block ×4, first 2 shown]
	v_and_b32_e32 v2, 0xff, v2
	v_cmpx_gt_u32_e32 0x80, v1
	s_cbranch_execz .LBB5_2
; %bb.1:
	s_delay_alu instid0(VALU_DEP_2)
	v_mad_u32 v3, v1, s8, v2
	v_mul_lo_u32 v4, 0x90, v1
	v_lshlrev_b32_e32 v5, 2, v2
	global_load_b32 v3, v3, s[4:5] scale_offset
	v_add3_u32 v4, 0, v4, v5
	s_wait_loadcnt 0x0
	ds_store_b32 v4, v3
.LBB5_2:
	s_or_b32 exec_lo, exec_lo, s6
	s_delay_alu instid0(VALU_DEP_2) | instskip(SKIP_1) | instid1(VALU_DEP_1)
	v_or_b32_e32 v2, 0x80, v2
	s_mov_b32 s6, exec_lo
	v_mul_lo_u16 v3, v2, 57
	s_delay_alu instid0(VALU_DEP_1) | instskip(NEXT) | instid1(VALU_DEP_1)
	v_lshrrev_b16 v3, 11, v3
	v_mul_lo_u16 v4, v3, 36
	v_and_b32_e32 v3, 0xffff, v3
	s_delay_alu instid0(VALU_DEP_2) | instskip(NEXT) | instid1(VALU_DEP_2)
	v_sub_nc_u16 v2, v2, v4
	v_add_nc_u32_e32 v1, v1, v3
	s_delay_alu instid0(VALU_DEP_2) | instskip(NEXT) | instid1(VALU_DEP_2)
	v_and_b32_e32 v2, 0xff, v2
	v_cmpx_gt_u32_e32 0x80, v1
	s_cbranch_execz .LBB5_4
; %bb.3:
	s_delay_alu instid0(VALU_DEP_2)
	v_mad_u32 v3, v1, s8, v2
	v_mul_lo_u32 v4, 0x90, v1
	v_lshlrev_b32_e32 v5, 2, v2
	global_load_b32 v3, v3, s[4:5] scale_offset
	v_add3_u32 v4, 0, v4, v5
	s_wait_loadcnt 0x0
	ds_store_b32 v4, v3
.LBB5_4:
	s_or_b32 exec_lo, exec_lo, s6
	s_delay_alu instid0(VALU_DEP_2) | instskip(SKIP_1) | instid1(VALU_DEP_1)
	v_or_b32_e32 v2, 0x80, v2
	s_mov_b32 s6, exec_lo
	v_mul_lo_u16 v3, v2, 57
	s_delay_alu instid0(VALU_DEP_1) | instskip(NEXT) | instid1(VALU_DEP_1)
	v_lshrrev_b16 v3, 11, v3
	v_mul_lo_u16 v4, v3, 36
	v_and_b32_e32 v3, 0xffff, v3
	s_delay_alu instid0(VALU_DEP_2) | instskip(NEXT) | instid1(VALU_DEP_2)
	v_sub_nc_u16 v2, v2, v4
	v_add_nc_u32_e32 v1, v1, v3
	s_delay_alu instid0(VALU_DEP_2) | instskip(NEXT) | instid1(VALU_DEP_2)
	;; [unrolled: 26-line block ×8, first 2 shown]
	v_and_b32_e32 v2, 0xff, v2
	v_cmpx_gt_u32_e32 0x80, v1
	s_cbranch_execz .LBB5_18
; %bb.17:
	s_delay_alu instid0(VALU_DEP_2)
	v_mad_u32 v3, v1, s8, v2
	v_mul_lo_u32 v4, 0x90, v1
	v_lshlrev_b32_e32 v5, 2, v2
	global_load_b32 v3, v3, s[4:5] scale_offset
	v_add3_u32 v4, 0, v4, v5
	s_wait_loadcnt 0x0
	ds_store_b32 v4, v3
.LBB5_18:
	s_or_b32 exec_lo, exec_lo, s6
	s_delay_alu instid0(SALU_CYCLE_1)
	s_mov_b32 s6, exec_lo
	v_cmpx_gt_u32_e32 0x380, v0
	s_cbranch_execz .LBB5_39
; %bb.19:
	v_or_b32_e32 v2, 0x80, v2
	s_mov_b32 s9, exec_lo
	s_delay_alu instid0(VALU_DEP_1) | instskip(NEXT) | instid1(VALU_DEP_1)
	v_mul_lo_u16 v3, v2, 57
	v_lshrrev_b16 v3, 11, v3
	s_delay_alu instid0(VALU_DEP_1) | instskip(SKIP_1) | instid1(VALU_DEP_2)
	v_mul_lo_u16 v4, v3, 36
	v_and_b32_e32 v3, 0xffff, v3
	v_sub_nc_u16 v2, v2, v4
	s_delay_alu instid0(VALU_DEP_2) | instskip(NEXT) | instid1(VALU_DEP_2)
	v_add_nc_u32_e32 v1, v1, v3
	v_and_b32_e32 v2, 0xff, v2
	s_delay_alu instid0(VALU_DEP_2)
	v_cmpx_gt_u32_e32 0x80, v1
	s_cbranch_execz .LBB5_21
; %bb.20:
	s_delay_alu instid0(VALU_DEP_2)
	v_mad_u32 v3, v1, s8, v2
	v_mul_lo_u32 v4, 0x90, v1
	v_lshlrev_b32_e32 v5, 2, v2
	global_load_b32 v3, v3, s[4:5] scale_offset
	v_add3_u32 v4, 0, v4, v5
	s_wait_loadcnt 0x0
	ds_store_b32 v4, v3
.LBB5_21:
	s_or_b32 exec_lo, exec_lo, s9
	v_cmp_gt_u32_e32 vcc_lo, 0x300, v0
	s_and_b32 exec_lo, exec_lo, vcc_lo
	s_cbranch_execz .LBB5_39
; %bb.22:
	v_or_b32_e32 v2, 0x80, v2
	s_mov_b32 s9, exec_lo
	s_delay_alu instid0(VALU_DEP_1) | instskip(NEXT) | instid1(VALU_DEP_1)
	v_mul_lo_u16 v3, v2, 57
	v_lshrrev_b16 v3, 11, v3
	s_delay_alu instid0(VALU_DEP_1) | instskip(SKIP_1) | instid1(VALU_DEP_2)
	v_mul_lo_u16 v4, v3, 36
	v_and_b32_e32 v3, 0xffff, v3
	v_sub_nc_u16 v2, v2, v4
	s_delay_alu instid0(VALU_DEP_2) | instskip(NEXT) | instid1(VALU_DEP_2)
	v_add_nc_u32_e32 v1, v1, v3
	v_and_b32_e32 v2, 0xff, v2
	s_delay_alu instid0(VALU_DEP_2)
	v_cmpx_gt_u32_e32 0x80, v1
	s_cbranch_execz .LBB5_24
; %bb.23:
	s_delay_alu instid0(VALU_DEP_2)
	v_mad_u32 v3, v1, s8, v2
	v_mul_lo_u32 v4, 0x90, v1
	v_lshlrev_b32_e32 v5, 2, v2
	global_load_b32 v3, v3, s[4:5] scale_offset
	v_add3_u32 v4, 0, v4, v5
	s_wait_loadcnt 0x0
	ds_store_b32 v4, v3
.LBB5_24:
	s_or_b32 exec_lo, exec_lo, s9
	v_cmp_gt_u32_e32 vcc_lo, 0x280, v0
	s_and_b32 exec_lo, exec_lo, vcc_lo
	;; [unrolled: 30-line block ×6, first 2 shown]
	s_cbranch_execz .LBB5_39
; %bb.37:
	v_or_b32_e32 v2, 0x80, v2
	s_delay_alu instid0(VALU_DEP_1) | instskip(NEXT) | instid1(VALU_DEP_1)
	v_mul_lo_u16 v3, v2, 57
	v_lshrrev_b16 v3, 11, v3
	s_delay_alu instid0(VALU_DEP_1) | instskip(NEXT) | instid1(VALU_DEP_1)
	v_and_b32_e32 v4, 0xffff, v3
	v_add_nc_u32_e32 v1, v1, v4
	s_delay_alu instid0(VALU_DEP_1)
	v_cmp_gt_u32_e32 vcc_lo, 0x80, v1
	s_and_b32 exec_lo, exec_lo, vcc_lo
	s_cbranch_execz .LBB5_39
; %bb.38:
	v_mul_lo_u16 v3, v3, 36
	s_delay_alu instid0(VALU_DEP_1) | instskip(NEXT) | instid1(VALU_DEP_1)
	v_sub_nc_u16 v2, v2, v3
	v_and_b32_e32 v2, 0xff, v2
	s_delay_alu instid0(VALU_DEP_1)
	v_mad_u32 v3, v1, s8, v2
	v_mul_lo_u32 v1, 0x90, v1
	v_lshlrev_b32_e32 v2, 2, v2
	global_load_b32 v3, v3, s[4:5] scale_offset
	v_add3_u32 v1, 0, v1, v2
	s_wait_loadcnt 0x0
	ds_store_b32 v1, v3
.LBB5_39:
	s_or_b32 exec_lo, exec_lo, s6
	s_clause 0x1
	s_load_b128 s[8:11], s[0:1], 0x8
	s_load_b64 s[14:15], s[0:1], 0x28
	s_ashr_i32 s4, s7, 2
	s_ashr_i32 s5, s7, 31
	v_mul_lo_u32 v6, s4, v0
	s_mov_b32 s4, s7
	s_wait_dscnt 0x0
	s_mul_u64 s[4:5], s[2:3], s[4:5]
	s_barrier_signal -1
	s_barrier_wait -1
	s_delay_alu instid0(VALU_DEP_1) | instskip(SKIP_3) | instid1(VALU_DEP_1)
	v_ashrrev_i32_e32 v7, 31, v6
	s_wait_kmcnt 0x0
	s_add_nc_u64 s[4:5], s[8:9], s[4:5]
	s_cmp_eq_u64 s[10:11], 0
	v_lshl_add_u64 v[8:9], v[6:7], 2, s[4:5]
	s_clause 0x1
	global_load_b32 v7, v6, s[4:5] offset:16 scale_offset
	global_load_b128 v[2:5], v[8:9], off
	s_cbranch_scc1 .LBB5_41
; %bb.40:
	s_wait_xcnt 0x1
	s_lshl_b64 s[4:5], s[2:3], 2
	s_delay_alu instid0(SALU_CYCLE_1)
	s_add_nc_u64 s[4:5], s[10:11], s[4:5]
	global_load_b32 v8, v0, s[4:5] scale_offset
	s_branch .LBB5_42
.LBB5_41:
	s_wait_xcnt 0x0
	v_mov_b32_e32 v8, 0
.LBB5_42:
	s_wait_xcnt 0x0
	s_load_b64 s[4:5], s[0:1], 0x40
	s_wait_kmcnt 0x0
	s_sub_nc_u64 s[6:7], s[4:5], s[12:13]
	s_delay_alu instid0(SALU_CYCLE_1)
	v_cmp_lt_i64_e64 s4, s[6:7], 1
	s_and_b32 vcc_lo, exec_lo, s4
	s_cbranch_vccnz .LBB5_50
; %bb.43:
	v_min_u64 v[12:13], s[6:7], 32
	s_load_b96 s[8:10], s[0:1], 0x30
	s_wait_loadcnt 0x0
	v_dual_mov_b32 v10, v3 :: v_dual_mov_b32 v11, v4
	v_dual_mov_b32 v6, v5 :: v_dual_mov_b32 v1, 0
	v_mul_u32_u24_e32 v24, 0x90, v0
	v_lshlrev_b32_e32 v0, 2, v0
	s_wait_kmcnt 0x0
	s_mul_i32 s0, s10, s16
	s_ashr_i32 s11, s9, 31
	s_ashr_i32 s17, s8, 31
	s_ashr_i32 s4, s9, 2
	s_ashr_i32 s1, s0, 31
	s_cmp_eq_u64 s[6:7], 1
	s_mov_b32 s16, s8
	s_cselect_b32 s5, -1, 0
	s_cmp_lg_u32 s4, 1
	s_mov_b32 s10, s9
	s_cselect_b32 s8, -1, 0
	s_mul_u64 s[6:7], s[12:13], s[10:11]
	s_or_b32 s5, s5, s8
	s_mul_u64 s[8:9], s[2:3], s[16:17]
	v_readfirstlane_b32 s2, v12
	v_readfirstlane_b32 s3, v13
	s_and_b32 vcc_lo, exec_lo, s5
	s_add_nc_u64 s[10:11], s[14:15], s[0:1]
	s_cbranch_vccnz .LBB5_47
; %bb.44:
	v_dual_mov_b32 v16, v2 :: v_dual_add_nc_u32 v25, 0, v24
	s_add_nc_u64 s[0:1], s[10:11], s[6:7]
	v_dual_mov_b32 v17, v2 :: v_dual_mov_b32 v18, v10
	ds_load_2addr_b32 v[12:13], v25 offset1:1
	s_add_nc_u64 s[0:1], s[0:1], s[8:9]
	v_dual_mov_b32 v19, v3 :: v_dual_mov_b32 v20, v4
	v_add_nc_u64_e32 v[14:15], s[0:1], v[0:1]
	v_dual_mov_b32 v21, v11 :: v_dual_mov_b32 v4, v6
	v_dual_mov_b32 v22, v7 :: v_dual_mov_b32 v23, v7
	v_mov_b32_e32 v9, v8
	s_and_b64 s[12:13], s[2:3], 62
	s_delay_alu instid0(SALU_CYCLE_1)
	s_mov_b64 s[14:15], s[12:13]
.LBB5_45:                               ; =>This Inner Loop Header: Depth=1
	ds_load_2addr_b32 v[26:27], v25 offset0:1 offset1:2
	s_wait_dscnt 0x1
	v_pk_fma_f32 v[28:29], v[16:17], v[12:13], 0 op_sel_hi:[1,1,0]
	ds_load_2addr_b32 v[12:13], v25 offset0:2 offset1:3
	ds_load_2addr_b32 v[30:31], v25 offset0:3 offset1:4
	;; [unrolled: 1-line block ×3, first 2 shown]
	s_add_nc_u64 s[14:15], s[14:15], -2
	v_add_nc_u32_e32 v25, 8, v25
	s_cmp_lg_u64 s[14:15], 0
	s_wait_dscnt 0x3
	v_pk_fma_f32 v[26:27], v[18:19], v[26:27], v[28:29]
	s_wait_dscnt 0x2
	s_delay_alu instid0(VALU_DEP_1) | instskip(SKIP_1) | instid1(VALU_DEP_1)
	v_pk_fma_f32 v[26:27], v[20:21], v[12:13], v[26:27]
	s_wait_dscnt 0x1
	v_pk_fma_f32 v[26:27], v[4:5], v[30:31], v[26:27]
	s_wait_dscnt 0x0
	s_delay_alu instid0(VALU_DEP_1) | instskip(NEXT) | instid1(VALU_DEP_1)
	v_pk_fma_f32 v[26:27], v[22:23], v[32:33], v[26:27]
	v_pk_add_f32 v[26:27], v[8:9], v[26:27]
	s_delay_alu instid0(VALU_DEP_1) | instskip(NEXT) | instid1(VALU_DEP_2)
	v_mul_f32_e32 v1, 0xbfb8aa3b, v27
	v_mul_f32_e32 v3, 0xbfb8aa3b, v26
	v_cmp_nlt_f32_e32 vcc_lo, 0x42ce8ed0, v26
	v_cmp_nlt_f32_e64 s0, 0x42ce8ed0, v27
	s_delay_alu instid0(VALU_DEP_4) | instskip(SKIP_3) | instid1(VALU_DEP_3)
	v_fma_f32 v28, 0xbfb8aa3b, v27, -v1
	v_rndne_f32_e32 v29, v1
	v_fma_f32 v30, 0xbfb8aa3b, v26, -v3
	v_rndne_f32_e32 v31, v3
	v_dual_fmac_f32 v28, 0xb2a5705f, v27 :: v_dual_sub_f32 v1, v1, v29
	s_delay_alu instid0(VALU_DEP_2) | instskip(NEXT) | instid1(VALU_DEP_2)
	v_dual_fmac_f32 v30, 0xb2a5705f, v26 :: v_dual_sub_f32 v3, v3, v31
	v_add_f32_e32 v1, v1, v28
	v_cvt_i32_f32_e32 v28, v29
	s_delay_alu instid0(VALU_DEP_3) | instskip(SKIP_1) | instid1(VALU_DEP_4)
	v_add_f32_e32 v3, v3, v30
	v_cvt_i32_f32_e32 v29, v31
	v_exp_f32_e32 v1, v1
	s_delay_alu instid0(VALU_DEP_2) | instskip(NEXT) | instid1(TRANS32_DEP_2)
	v_exp_f32_e32 v3, v3
	v_ldexp_f32 v1, v1, v28
	s_delay_alu instid0(TRANS32_DEP_1) | instskip(NEXT) | instid1(VALU_DEP_2)
	v_ldexp_f32 v3, v3, v29
	v_cndmask_b32_e64 v1, 0, v1, s0
	v_cmp_ngt_f32_e64 s0, 0xc2b17218, v27
	s_delay_alu instid0(VALU_DEP_3) | instskip(SKIP_1) | instid1(VALU_DEP_3)
	v_cndmask_b32_e32 v3, 0, v3, vcc_lo
	v_cmp_ngt_f32_e32 vcc_lo, 0xc2b17218, v26
	v_cndmask_b32_e64 v29, 0x7f800000, v1, s0
	s_delay_alu instid0(VALU_DEP_3) | instskip(NEXT) | instid1(VALU_DEP_1)
	v_cndmask_b32_e32 v28, 0x7f800000, v3, vcc_lo
	v_pk_add_f32 v[28:29], v[28:29], 1.0 op_sel_hi:[1,0]
	s_delay_alu instid0(VALU_DEP_1) | instskip(NEXT) | instid1(VALU_DEP_2)
	v_div_scale_f32 v1, null, v29, v29, v27
	v_div_scale_f32 v3, null, v28, v28, v26
	v_div_scale_f32 v30, vcc_lo, v27, v29, v27
	s_delay_alu instid0(VALU_DEP_3) | instskip(NEXT) | instid1(VALU_DEP_2)
	v_rcp_f32_e32 v31, v1
	v_rcp_f32_e32 v32, v3
	v_div_scale_f32 v33, s0, v26, v28, v26
	s_delay_alu instid0(TRANS32_DEP_2) | instskip(NEXT) | instid1(TRANS32_DEP_1)
	v_fma_f32 v34, -v1, v31, 1.0
	v_fma_f32 v35, -v3, v32, 1.0
	s_delay_alu instid0(VALU_DEP_1) | instskip(NEXT) | instid1(VALU_DEP_1)
	v_dual_fmac_f32 v31, v34, v31 :: v_dual_fmac_f32 v32, v35, v32
	v_dual_mul_f32 v34, v30, v31 :: v_dual_mul_f32 v35, v33, v32
	s_delay_alu instid0(VALU_DEP_1) | instskip(NEXT) | instid1(VALU_DEP_1)
	v_fma_f32 v36, -v1, v34, v30
	v_fmac_f32_e32 v34, v36, v31
	s_delay_alu instid0(VALU_DEP_1) | instskip(NEXT) | instid1(VALU_DEP_1)
	v_dual_fma_f32 v37, -v3, v35, v33 :: v_dual_fma_f32 v1, -v1, v34, v30
	v_fmac_f32_e32 v35, v37, v32
	s_delay_alu instid0(VALU_DEP_2) | instskip(NEXT) | instid1(VALU_DEP_2)
	v_div_fmas_f32 v1, v1, v31, v34
	v_fma_f32 v3, -v3, v35, v33
	s_mov_b32 vcc_lo, s0
	s_delay_alu instid0(VALU_DEP_2) | instskip(NEXT) | instid1(VALU_DEP_2)
	v_div_fixup_f32 v27, v1, v29, v27
	v_div_fmas_f32 v3, v3, v32, v35
	s_delay_alu instid0(VALU_DEP_1)
	v_div_fixup_f32 v26, v3, v28, v26
	global_store_b64 v[14:15], v[26:27], off
	s_wait_xcnt 0x0
	v_add_nc_u64_e32 v[14:15], 8, v[14:15]
	s_cbranch_scc1 .LBB5_45
; %bb.46:
	s_cmp_lg_u64 s[2:3], s[12:13]
	s_cselect_b32 s0, -1, 0
	s_delay_alu instid0(SALU_CYCLE_1)
	s_and_b32 vcc_lo, exec_lo, s0
	s_cbranch_vccnz .LBB5_48
	s_branch .LBB5_50
.LBB5_47:
	s_mov_b64 s[12:13], 0
	s_cbranch_execz .LBB5_50
.LBB5_48:
	s_lshl_b32 s0, s12, 2
	s_ashr_i32 s5, s4, 31
	v_add3_u32 v3, 0, s0, v24
	s_mul_u64 s[0:1], s[12:13], s[4:5]
	s_add_nc_u64 s[6:7], s[8:9], s[6:7]
	s_lshl_b64 s[0:1], s[0:1], 2
	v_mov_b32_e32 v1, 0
	ds_load_b32 v4, v3
	s_add_nc_u64 s[0:1], s[6:7], s[0:1]
	s_delay_alu instid0(SALU_CYCLE_1) | instskip(NEXT) | instid1(SALU_CYCLE_1)
	s_add_nc_u64 s[0:1], s[10:11], s[0:1]
	v_add_nc_u64_e32 v[0:1], s[0:1], v[0:1]
	s_sub_nc_u64 s[0:1], s[2:3], s[12:13]
	s_lshl_b64 s[2:3], s[4:5], 2
.LBB5_49:                               ; =>This Inner Loop Header: Depth=1
	s_wait_dscnt 0x0
	v_fma_f32 v9, v2, v4, 0
	ds_load_2addr_b32 v[4:5], v3 offset0:1 offset1:2
	ds_load_2addr_b32 v[12:13], v3 offset0:3 offset1:4
	s_add_nc_u64 s[0:1], s[0:1], -1
	v_add_nc_u32_e32 v3, 4, v3
	s_cmp_lg_u64 s[0:1], 0
	s_wait_dscnt 0x1
	v_pk_mul_f32 v[14:15], v[10:11], v[4:5]
	s_wait_dscnt 0x0
	v_pk_mul_f32 v[12:13], v[6:7], v[12:13]
	s_delay_alu instid0(VALU_DEP_2) | instskip(NEXT) | instid1(VALU_DEP_1)
	v_add_f32_e32 v5, v9, v14
	v_add_f32_e32 v5, v5, v15
	s_delay_alu instid0(VALU_DEP_1) | instskip(NEXT) | instid1(VALU_DEP_1)
	v_add_f32_e32 v5, v5, v12
	v_add_f32_e32 v5, v5, v13
	s_delay_alu instid0(VALU_DEP_1) | instskip(NEXT) | instid1(VALU_DEP_1)
	v_add_f32_e32 v5, v8, v5
	v_mul_f32_e32 v9, 0xbfb8aa3b, v5
	s_delay_alu instid0(VALU_DEP_1) | instskip(SKIP_1) | instid1(VALU_DEP_2)
	v_fma_f32 v12, 0xbfb8aa3b, v5, -v9
	v_rndne_f32_e32 v13, v9
	v_fmac_f32_e32 v12, 0xb2a5705f, v5
	s_delay_alu instid0(VALU_DEP_2) | instskip(NEXT) | instid1(VALU_DEP_1)
	v_sub_f32_e32 v9, v9, v13
	v_add_f32_e32 v9, v9, v12
	v_cvt_i32_f32_e32 v12, v13
	v_cmp_nlt_f32_e32 vcc_lo, 0x42ce8ed0, v5
	s_delay_alu instid0(VALU_DEP_3) | instskip(SKIP_1) | instid1(TRANS32_DEP_1)
	v_exp_f32_e32 v9, v9
	v_nop
	v_ldexp_f32 v9, v9, v12
	s_delay_alu instid0(VALU_DEP_1) | instskip(SKIP_1) | instid1(VALU_DEP_2)
	v_cndmask_b32_e32 v9, 0, v9, vcc_lo
	v_cmp_ngt_f32_e32 vcc_lo, 0xc2b17218, v5
	v_cndmask_b32_e32 v9, 0x7f800000, v9, vcc_lo
	s_delay_alu instid0(VALU_DEP_1) | instskip(NEXT) | instid1(VALU_DEP_1)
	v_add_f32_e32 v9, 1.0, v9
	v_div_scale_f32 v12, null, v9, v9, v5
	v_div_scale_f32 v15, vcc_lo, v5, v9, v5
	s_delay_alu instid0(VALU_DEP_2) | instskip(SKIP_1) | instid1(TRANS32_DEP_1)
	v_rcp_f32_e32 v13, v12
	v_nop
	v_fma_f32 v14, -v12, v13, 1.0
	s_delay_alu instid0(VALU_DEP_1) | instskip(NEXT) | instid1(VALU_DEP_1)
	v_fmac_f32_e32 v13, v14, v13
	v_mul_f32_e32 v14, v15, v13
	s_delay_alu instid0(VALU_DEP_1) | instskip(NEXT) | instid1(VALU_DEP_1)
	v_fma_f32 v16, -v12, v14, v15
	v_fmac_f32_e32 v14, v16, v13
	s_delay_alu instid0(VALU_DEP_1) | instskip(NEXT) | instid1(VALU_DEP_1)
	v_fma_f32 v12, -v12, v14, v15
	v_div_fmas_f32 v12, v12, v13, v14
	s_delay_alu instid0(VALU_DEP_1)
	v_div_fixup_f32 v5, v12, v9, v5
	global_store_b32 v[0:1], v5, off
	s_wait_xcnt 0x0
	v_add_nc_u64_e32 v[0:1], s[2:3], v[0:1]
	s_cbranch_scc1 .LBB5_49
.LBB5_50:
	s_endpgm
	.section	.rodata,"a",@progbits
	.p2align	6, 0x0
	.amdhsa_kernel _ZL23ssm_conv_long_token_f32ILb1ELm128ELm5ELl32EEvPKfS1_S1_iiiiPfiiil
		.amdhsa_group_segment_fixed_size 0
		.amdhsa_private_segment_fixed_size 0
		.amdhsa_kernarg_size 72
		.amdhsa_user_sgpr_count 2
		.amdhsa_user_sgpr_dispatch_ptr 0
		.amdhsa_user_sgpr_queue_ptr 0
		.amdhsa_user_sgpr_kernarg_segment_ptr 1
		.amdhsa_user_sgpr_dispatch_id 0
		.amdhsa_user_sgpr_kernarg_preload_length 0
		.amdhsa_user_sgpr_kernarg_preload_offset 0
		.amdhsa_user_sgpr_private_segment_size 0
		.amdhsa_wavefront_size32 1
		.amdhsa_uses_dynamic_stack 0
		.amdhsa_enable_private_segment 0
		.amdhsa_system_sgpr_workgroup_id_x 1
		.amdhsa_system_sgpr_workgroup_id_y 1
		.amdhsa_system_sgpr_workgroup_id_z 1
		.amdhsa_system_sgpr_workgroup_info 0
		.amdhsa_system_vgpr_workitem_id 0
		.amdhsa_next_free_vgpr 64
		.amdhsa_next_free_sgpr 20
		.amdhsa_named_barrier_count 0
		.amdhsa_reserve_vcc 1
		.amdhsa_float_round_mode_32 0
		.amdhsa_float_round_mode_16_64 0
		.amdhsa_float_denorm_mode_32 3
		.amdhsa_float_denorm_mode_16_64 3
		.amdhsa_fp16_overflow 0
		.amdhsa_memory_ordered 1
		.amdhsa_forward_progress 1
		.amdhsa_inst_pref_size 53
		.amdhsa_round_robin_scheduling 0
		.amdhsa_exception_fp_ieee_invalid_op 0
		.amdhsa_exception_fp_denorm_src 0
		.amdhsa_exception_fp_ieee_div_zero 0
		.amdhsa_exception_fp_ieee_overflow 0
		.amdhsa_exception_fp_ieee_underflow 0
		.amdhsa_exception_fp_ieee_inexact 0
		.amdhsa_exception_int_div_zero 0
	.end_amdhsa_kernel
	.section	.text._ZL23ssm_conv_long_token_f32ILb1ELm128ELm5ELl32EEvPKfS1_S1_iiiiPfiiil,"axG",@progbits,_ZL23ssm_conv_long_token_f32ILb1ELm128ELm5ELl32EEvPKfS1_S1_iiiiPfiiil,comdat
.Lfunc_end5:
	.size	_ZL23ssm_conv_long_token_f32ILb1ELm128ELm5ELl32EEvPKfS1_S1_iiiiPfiiil, .Lfunc_end5-_ZL23ssm_conv_long_token_f32ILb1ELm128ELm5ELl32EEvPKfS1_S1_iiiiPfiiil
                                        ; -- End function
	.set _ZL23ssm_conv_long_token_f32ILb1ELm128ELm5ELl32EEvPKfS1_S1_iiiiPfiiil.num_vgpr, 64
	.set _ZL23ssm_conv_long_token_f32ILb1ELm128ELm5ELl32EEvPKfS1_S1_iiiiPfiiil.num_agpr, 0
	.set _ZL23ssm_conv_long_token_f32ILb1ELm128ELm5ELl32EEvPKfS1_S1_iiiiPfiiil.numbered_sgpr, 20
	.set _ZL23ssm_conv_long_token_f32ILb1ELm128ELm5ELl32EEvPKfS1_S1_iiiiPfiiil.num_named_barrier, 0
	.set _ZL23ssm_conv_long_token_f32ILb1ELm128ELm5ELl32EEvPKfS1_S1_iiiiPfiiil.private_seg_size, 0
	.set _ZL23ssm_conv_long_token_f32ILb1ELm128ELm5ELl32EEvPKfS1_S1_iiiiPfiiil.uses_vcc, 1
	.set _ZL23ssm_conv_long_token_f32ILb1ELm128ELm5ELl32EEvPKfS1_S1_iiiiPfiiil.uses_flat_scratch, 0
	.set _ZL23ssm_conv_long_token_f32ILb1ELm128ELm5ELl32EEvPKfS1_S1_iiiiPfiiil.has_dyn_sized_stack, 0
	.set _ZL23ssm_conv_long_token_f32ILb1ELm128ELm5ELl32EEvPKfS1_S1_iiiiPfiiil.has_recursion, 0
	.set _ZL23ssm_conv_long_token_f32ILb1ELm128ELm5ELl32EEvPKfS1_S1_iiiiPfiiil.has_indirect_call, 0
	.section	.AMDGPU.csdata,"",@progbits
; Kernel info:
; codeLenInByte = 6780
; TotalNumSgprs: 22
; NumVgprs: 64
; ScratchSize: 0
; MemoryBound: 0
; FloatMode: 240
; IeeeMode: 1
; LDSByteSize: 0 bytes/workgroup (compile time only)
; SGPRBlocks: 0
; VGPRBlocks: 3
; NumSGPRsForWavesPerEU: 22
; NumVGPRsForWavesPerEU: 64
; NamedBarCnt: 0
; Occupancy: 16
; WaveLimiterHint : 0
; COMPUTE_PGM_RSRC2:SCRATCH_EN: 0
; COMPUTE_PGM_RSRC2:USER_SGPR: 2
; COMPUTE_PGM_RSRC2:TRAP_HANDLER: 0
; COMPUTE_PGM_RSRC2:TGID_X_EN: 1
; COMPUTE_PGM_RSRC2:TGID_Y_EN: 1
; COMPUTE_PGM_RSRC2:TGID_Z_EN: 1
; COMPUTE_PGM_RSRC2:TIDIG_COMP_CNT: 0
	.section	.text._ZL12ssm_conv_f32ILb1ELm128ELm9EEvPKfS1_S1_iiiiPfiiil,"axG",@progbits,_ZL12ssm_conv_f32ILb1ELm128ELm9EEvPKfS1_S1_iiiiPfiiil,comdat
	.globl	_ZL12ssm_conv_f32ILb1ELm128ELm9EEvPKfS1_S1_iiiiPfiiil ; -- Begin function _ZL12ssm_conv_f32ILb1ELm128ELm9EEvPKfS1_S1_iiiiPfiiil
	.p2align	8
	.type	_ZL12ssm_conv_f32ILb1ELm128ELm9EEvPKfS1_S1_iiiiPfiiil,@function
_ZL12ssm_conv_f32ILb1ELm128ELm9EEvPKfS1_S1_iiiiPfiiil: ; @_ZL12ssm_conv_f32ILb1ELm128ELm9EEvPKfS1_S1_iiiiPfiiil
; %bb.0:
	s_load_b64 s[2:3], s[0:1], 0x10
	s_bfe_u32 s4, ttmp6, 0x40010
	s_bfe_u32 s5, ttmp6, 0x40004
	s_add_co_i32 s4, s4, 1
	s_getreg_b32 s11, hwreg(HW_REG_IB_STS2, 6, 4)
	s_mul_i32 s4, ttmp7, s4
	s_delay_alu instid0(SALU_CYCLE_1) | instskip(SKIP_2) | instid1(SALU_CYCLE_1)
	s_add_co_i32 s5, s5, s4
	s_cmp_eq_u32 s11, 0
	s_cselect_b32 s4, ttmp7, s5
	s_ashr_i32 s5, s4, 31
	s_delay_alu instid0(SALU_CYCLE_1)
	s_lshl_b64 s[12:13], s[4:5], 7
	s_wait_kmcnt 0x0
	s_cmp_eq_u64 s[2:3], 0
	s_cbranch_scc1 .LBB6_2
; %bb.1:
	s_lshl_b64 s[4:5], s[12:13], 2
	s_delay_alu instid0(SALU_CYCLE_1)
	s_add_nc_u64 s[2:3], s[2:3], s[4:5]
	global_load_b32 v11, v0, s[2:3] scale_offset
	s_wait_xcnt 0x0
	s_load_b64 s[2:3], s[0:1], 0x40
	s_wait_kmcnt 0x0
	v_cmp_lt_i64_e64 s4, s[2:3], 1
	s_and_b32 vcc_lo, exec_lo, s4
	s_cbranch_vccz .LBB6_3
	s_branch .LBB6_6
.LBB6_2:
	v_mov_b32_e32 v11, 0
	s_load_b64 s[2:3], s[0:1], 0x40
	s_wait_kmcnt 0x0
	v_cmp_lt_i64_e64 s4, s[2:3], 1
	s_and_b32 vcc_lo, exec_lo, s4
	s_cbranch_vccnz .LBB6_6
.LBB6_3:
	s_clause 0x1
	s_load_b96 s[8:10], s[0:1], 0x1c
	s_load_b128 s[4:7], s[0:1], 0x0
	s_bfe_u32 s14, ttmp6, 0x4000c
	s_and_b32 s15, ttmp6, 15
	s_add_co_i32 s14, s14, 1
	s_delay_alu instid0(SALU_CYCLE_1) | instskip(NEXT) | instid1(SALU_CYCLE_1)
	s_mul_i32 s14, ttmp9, s14
	s_add_co_i32 s14, s15, s14
	s_wait_kmcnt 0x0
	s_ashr_i32 s15, s10, 31
	s_ashr_i32 s16, s10, 2
	s_cmp_eq_u32 s11, 0
	v_mul_lo_u32 v16, s16, v0
	s_cselect_b32 s16, ttmp9, s14
	s_ashr_i32 s11, s8, 2
	s_mov_b32 s14, s10
	v_mul_lo_u32 v18, s11, v0
	s_mul_u64 s[10:11], s[12:13], s[14:15]
	s_mul_i32 s14, s9, s16
	s_ashr_i32 s9, s8, 31
	s_ashr_i32 s15, s14, 31
	s_mul_u64 s[8:9], s[12:13], s[8:9]
	s_add_nc_u64 s[4:5], s[4:5], s[14:15]
	v_ashrrev_i32_e32 v17, 31, v16
	s_add_nc_u64 s[6:7], s[6:7], s[10:11]
	s_add_nc_u64 s[4:5], s[4:5], s[8:9]
	s_delay_alu instid0(VALU_DEP_2) | instskip(NEXT) | instid1(VALU_DEP_2)
	v_ashrrev_i32_e32 v19, 31, v18
	v_lshl_add_u64 v[20:21], v[16:17], 2, s[6:7]
	s_delay_alu instid0(VALU_DEP_2)
	v_lshl_add_u64 v[22:23], v[18:19], 2, s[4:5]
	global_load_b128 v[12:15], v[20:21], off
	global_load_b128 v[2:5], v[22:23], off
	global_load_b128 v[24:27], v[20:21], off offset:16
	s_clause 0x1
	global_load_b128 v[6:9], v[22:23], off offset:16
	global_load_b32 v10, v18, s[4:5] offset:32 scale_offset
	global_load_b32 v17, v16, s[6:7] offset:32 scale_offset
	s_wait_xcnt 0x0
	s_load_b96 s[4:6], s[0:1], 0x30
	s_wait_kmcnt 0x0
	s_mul_i32 s6, s6, s16
	s_load_b64 s[0:1], s[0:1], 0x28
	s_ashr_i32 s7, s6, 31
	s_ashr_i32 s11, s4, 31
	s_mov_b32 s10, s4
	s_cmp_eq_u64 s[2:3], 1
	s_wait_kmcnt 0x0
	s_add_nc_u64 s[8:9], s[0:1], s[6:7]
	s_mul_u64 s[6:7], s[12:13], s[10:11]
	s_mov_b32 s1, 0
	s_add_nc_u64 s[10:11], s[8:9], s[6:7]
	s_wait_loadcnt 0x5
	v_dual_mov_b32 v18, v13 :: v_dual_mov_b32 v19, v14
	s_wait_loadcnt 0x4
	v_dual_mov_b32 v20, v3 :: v_dual_mov_b32 v21, v4
	v_fma_f32 v1, v12, v2, 0
	s_wait_loadcnt 0x3
	v_dual_mov_b32 v14, v15 :: v_dual_mov_b32 v15, v24
	s_wait_loadcnt 0x2
	v_dual_mov_b32 v28, v5 :: v_dual_mov_b32 v29, v6
	v_pk_mul_f32 v[20:21], v[18:19], v[20:21]
	v_dual_mov_b32 v24, v7 :: v_dual_mov_b32 v16, v27
	s_delay_alu instid0(VALU_DEP_3) | instskip(NEXT) | instid1(VALU_DEP_3)
	v_pk_mul_f32 v[28:29], v[14:15], v[28:29]
	v_add_f32_e32 v1, v1, v20
	v_dual_mov_b32 v20, v25 :: v_dual_mov_b32 v25, v8
	s_delay_alu instid0(VALU_DEP_2) | instskip(NEXT) | instid1(VALU_DEP_1)
	v_dual_add_f32 v1, v1, v21 :: v_dual_mov_b32 v21, v26
	v_add_f32_e32 v1, v1, v28
	s_delay_alu instid0(VALU_DEP_2) | instskip(SKIP_2) | instid1(VALU_DEP_3)
	v_pk_mul_f32 v[24:25], v[20:21], v[24:25]
	v_mov_b32_e32 v28, v9
	s_wait_loadcnt 0x1
	v_dual_add_f32 v1, v1, v29 :: v_dual_mov_b32 v29, v10
	s_delay_alu instid0(VALU_DEP_1) | instskip(SKIP_1) | instid1(VALU_DEP_2)
	v_add_f32_e32 v1, v1, v24
	s_wait_loadcnt 0x0
	v_pk_mul_f32 v[26:27], v[16:17], v[28:29]
	s_delay_alu instid0(VALU_DEP_2) | instskip(NEXT) | instid1(VALU_DEP_1)
	v_add_f32_e32 v1, v1, v25
	v_add_f32_e32 v1, v1, v26
	s_delay_alu instid0(VALU_DEP_1) | instskip(NEXT) | instid1(VALU_DEP_1)
	v_add_f32_e32 v1, v1, v27
	v_add_f32_e32 v1, v11, v1
	s_delay_alu instid0(VALU_DEP_1) | instskip(SKIP_1) | instid1(VALU_DEP_2)
	v_mul_f32_e32 v13, 0xbfb8aa3b, v1
	v_cmp_nlt_f32_e32 vcc_lo, 0x42ce8ed0, v1
	v_fma_f32 v24, 0xbfb8aa3b, v1, -v13
	v_rndne_f32_e32 v25, v13
	s_delay_alu instid0(VALU_DEP_2) | instskip(NEXT) | instid1(VALU_DEP_2)
	v_fmac_f32_e32 v24, 0xb2a5705f, v1
	v_sub_f32_e32 v13, v13, v25
	s_delay_alu instid0(VALU_DEP_1) | instskip(SKIP_1) | instid1(VALU_DEP_2)
	v_add_f32_e32 v13, v13, v24
	v_cvt_i32_f32_e32 v24, v25
	v_exp_f32_e32 v13, v13
	v_nop
	s_delay_alu instid0(TRANS32_DEP_1) | instskip(NEXT) | instid1(VALU_DEP_1)
	v_ldexp_f32 v13, v13, v24
	v_cndmask_b32_e32 v13, 0, v13, vcc_lo
	v_cmp_ngt_f32_e32 vcc_lo, 0xc2b17218, v1
	s_delay_alu instid0(VALU_DEP_2) | instskip(NEXT) | instid1(VALU_DEP_1)
	v_cndmask_b32_e32 v13, 0x7f800000, v13, vcc_lo
	v_add_f32_e32 v13, 1.0, v13
	s_delay_alu instid0(VALU_DEP_1) | instskip(NEXT) | instid1(VALU_DEP_1)
	v_div_scale_f32 v24, null, v13, v13, v1
	v_rcp_f32_e32 v25, v24
	v_nop
	s_delay_alu instid0(TRANS32_DEP_1) | instskip(NEXT) | instid1(VALU_DEP_1)
	v_fma_f32 v26, -v24, v25, 1.0
	v_fmac_f32_e32 v25, v26, v25
	v_div_scale_f32 v26, vcc_lo, v1, v13, v1
	s_delay_alu instid0(VALU_DEP_1) | instskip(NEXT) | instid1(VALU_DEP_1)
	v_mul_f32_e32 v27, v26, v25
	v_fma_f32 v28, -v24, v27, v26
	s_delay_alu instid0(VALU_DEP_1) | instskip(NEXT) | instid1(VALU_DEP_1)
	v_fmac_f32_e32 v27, v28, v25
	v_fma_f32 v24, -v24, v27, v26
	s_delay_alu instid0(VALU_DEP_1) | instskip(NEXT) | instid1(VALU_DEP_1)
	v_div_fmas_f32 v24, v24, v25, v27
	v_div_fixup_f32 v13, v24, v13, v1
	v_mov_b32_e32 v1, 0
	global_store_b32 v0, v13, s[10:11] scale_offset
	s_cbranch_scc1 .LBB6_6
; %bb.4:
	s_ashr_i32 s4, s5, 2
	s_wait_xcnt 0x0
	v_lshlrev_b32_e32 v0, 2, v0
	s_ashr_i32 s5, s4, 31
	v_add_nc_u64_e32 v[22:23], 36, v[22:23]
	s_lshl_b64 s[4:5], s[4:5], 2
	s_add_nc_u64 s[2:3], s[2:3], -1
	s_add_nc_u64 s[10:11], s[6:7], s[4:5]
	s_mov_b64 s[6:7], 1
	s_add_nc_u64 s[10:11], s[8:9], s[10:11]
	s_mov_b64 s[8:9], 0
	v_add_nc_u64_e32 v[0:1], s[10:11], v[0:1]
	s_mov_b64 s[10:11], 9
	s_mov_b64 s[12:13], 8
	;; [unrolled: 1-line block ×11, first 2 shown]
.LBB6_5:                                ; =>This Inner Loop Header: Depth=1
	global_load_b32 v13, v[22:23], off
	s_and_b64 s[42:43], s[6:7], s[18:19]
	s_mov_b32 s52, s10
	s_mov_b32 s53, s1
	;; [unrolled: 1-line block ×4, first 2 shown]
	s_mul_u64 s[98:99], s[42:43], s[16:17]
	s_mov_b32 s78, s14
	s_mov_b32 s79, s1
	;; [unrolled: 1-line block ×4, first 2 shown]
	s_mul_u64 s[100:101], s[52:53], s[16:17]
	s_mov_b32 s40, s99
	s_mul_u64 s[98:99], s[74:75], s[16:17]
	s_mov_b32 s86, s24
	s_mov_b32 s87, s1
	;; [unrolled: 1-line block ×5, first 2 shown]
	s_mul_u64 s[100:101], s[78:79], s[16:17]
	s_mov_b32 s76, s99
	s_mul_u64 s[98:99], s[82:83], s[16:17]
	s_mov_b32 s0, s7
	s_mov_b32 s94, s28
	;; [unrolled: 1-line block ×4, first 2 shown]
	s_mul_u64 s[100:101], s[86:87], s[16:17]
	s_mov_b32 s84, s99
	s_mul_u64 s[98:99], s[90:91], s[16:17]
	s_mov_b32 s41, s1
	;; [unrolled: 2-line block ×5, first 2 shown]
	s_mov_b32 s63, s1
	s_mov_b32 s68, s99
	s_mul_u64 s[98:99], s[0:1], s[16:17]
	s_add_nc_u64 s[96:97], s[96:97], s[40:41]
	s_mul_u64 s[102:103], s[0:1], s[20:21]
	s_mov_b32 s0, s13
	s_add_nc_u64 s[62:63], s[98:99], s[62:63]
	s_mul_u64 s[42:43], s[42:43], s[20:21]
	s_mov_b32 s44, s97
	s_mov_b32 s97, s1
	s_mul_u64 s[40:41], s[0:1], s[16:17]
	s_mul_u64 s[52:53], s[52:53], s[20:21]
	s_add_nc_u64 s[42:43], s[42:43], s[96:97]
	s_mul_u64 s[96:97], s[0:1], s[20:21]
	s_mov_b32 s0, s15
	s_mov_b32 s64, s63
	;; [unrolled: 1-line block ×4, first 2 shown]
	s_add_nc_u64 s[52:53], s[52:53], s[62:63]
	s_mul_u64 s[62:63], s[0:1], s[16:17]
	s_mov_b32 s77, s1
	s_add_nc_u64 s[62:63], s[62:63], s[80:81]
	s_mov_b32 s80, s30
	s_add_nc_u64 s[76:77], s[40:41], s[76:77]
	s_mov_b32 s46, s43
	s_mul_u64 s[42:43], s[80:81], s[16:17]
	s_mov_b32 s66, s77
	s_mov_b32 s98, s43
	s_mul_u64 s[42:43], s[74:75], s[20:21]
	s_mul_u64 s[74:75], s[0:1], s[20:21]
	s_mov_b32 s0, s23
	s_mov_b32 s77, s1
	;; [unrolled: 1-line block ×4, first 2 shown]
	s_add_nc_u64 s[52:53], s[42:43], s[76:77]
	s_mul_u64 s[42:43], s[0:1], s[16:17]
	s_mov_b32 s65, s1
	s_mov_b32 s73, s1
	s_add_nc_u64 s[76:77], s[42:43], s[84:85]
	s_mul_u64 s[84:85], s[0:1], s[20:21]
	s_mov_b32 s0, s25
	s_mov_b32 s89, s1
	s_add_nc_u64 s[64:65], s[64:65], s[72:73]
	s_mov_b32 s72, s8
	s_mul_u64 s[78:79], s[78:79], s[20:21]
	s_mov_b32 s70, s53
	s_mov_b32 s58, s63
	s_mov_b32 s63, s1
	s_mul_u64 s[52:53], s[0:1], s[16:17]
	s_mov_b32 s67, s1
	s_mov_b32 s71, s1
	s_add_nc_u64 s[78:79], s[78:79], s[62:63]
	s_add_nc_u64 s[88:89], s[52:53], s[88:89]
	s_mul_u64 s[52:53], s[72:73], s[16:17]
	s_mul_u64 s[62:63], s[72:73], s[20:21]
	;; [unrolled: 1-line block ×3, first 2 shown]
	s_mov_b32 s0, s27
	s_mov_b32 s93, s1
	s_mul_u64 s[82:83], s[82:83], s[20:21]
	s_add_nc_u64 s[70:71], s[66:67], s[70:71]
	s_mov_b32 s54, s77
	s_mov_b32 s77, s1
	s_mov_b32 s60, s79
	s_mul_u64 s[78:79], s[0:1], s[16:17]
	s_mul_u64 s[66:67], s[0:1], s[20:21]
	s_mov_b32 s0, s29
	s_mov_b32 s59, s1
	;; [unrolled: 1-line block ×4, first 2 shown]
	s_add_nc_u64 s[102:103], s[102:103], s[64:65]
	s_mul_u64 s[86:87], s[86:87], s[20:21]
	s_mul_u64 s[64:65], s[80:81], s[20:21]
	s_add_nc_u64 s[76:77], s[82:83], s[76:77]
	s_mov_b32 s48, s89
	s_mov_b32 s89, s1
	s_add_nc_u64 s[78:79], s[78:79], s[92:93]
	s_mul_u64 s[80:81], s[0:1], s[16:17]
	s_add_nc_u64 s[82:83], s[96:97], s[70:71]
	s_mul_u64 s[70:71], s[0:1], s[20:21]
	s_mov_b32 s0, s31
	s_mov_b32 s55, s1
	s_mov_b32 s57, s1
	s_mov_b32 s99, s1
	s_mul_u64 s[90:91], s[90:91], s[20:21]
	s_add_nc_u64 s[58:59], s[58:59], s[60:61]
	s_mov_b32 s56, s77
	s_add_nc_u64 s[60:61], s[86:87], s[88:89]
	s_mov_b32 s36, s79
	s_mov_b32 s79, s1
	s_add_nc_u64 s[68:69], s[80:81], s[68:69]
	s_mul_u64 s[76:77], s[0:1], s[16:17]
	s_mul_u64 s[80:81], s[0:1], s[20:21]
	s_mov_b32 s0, s9
	s_mov_b32 s45, s1
	;; [unrolled: 1-line block ×5, first 2 shown]
	s_mov_b32 vcc_lo, s53
	s_mov_b32 vcc_hi, s1
	s_mul_u64 s[94:95], s[94:95], s[20:21]
	s_lshr_b64 s[96:97], s[102:103], 3
	s_add_nc_u64 s[58:59], s[74:75], s[58:59]
	s_add_nc_u64 s[54:55], s[54:55], s[56:57]
	s_mov_b32 s50, s61
	s_add_nc_u64 s[56:57], s[90:91], s[78:79]
	s_mov_b32 s34, s69
	s_mov_b32 s69, s1
	s_add_nc_u64 s[60:61], s[76:77], s[98:99]
	s_mul_u64 s[74:75], s[0:1], s[16:17]
	s_mov_b32 s37, s1
	s_mov_b32 s39, s1
	s_add_nc_u64 s[46:47], s[44:45], s[46:47]
	s_mul_i32 s40, s96, 9
	s_add_nc_u64 s[48:49], s[48:49], s[50:51]
	s_mov_b32 s38, s57
	s_add_nc_u64 s[50:51], s[94:95], s[68:69]
	s_mov_b32 s42, s61
	s_mov_b32 s61, s1
	s_add_nc_u64 s[56:57], s[74:75], vcc
	s_mov_b32 s35, s1
	s_mov_b32 s41, s1
	s_add_nc_u64 s[100:101], s[100:101], s[46:47]
	s_lshr_b64 s[58:59], s[58:59], 3
	s_sub_co_i32 s50, s8, s40
	s_add_nc_u64 s[36:37], s[36:37], s[38:39]
	s_mov_b32 s40, s51
	s_add_nc_u64 s[38:39], s[64:65], s[60:61]
	s_mov_b32 s46, s57
	s_mov_b32 s57, s1
	s_add_nc_u64 s[48:49], s[72:73], s[48:49]
	s_mov_b32 s43, s1
	s_mul_i32 s52, s58, 9
	s_add_nc_u64 s[36:37], s[66:67], s[36:37]
	s_add_nc_u64 s[34:35], s[34:35], s[40:41]
	s_mov_b32 s44, s39
	s_add_nc_u64 s[38:39], s[62:63], s[56:57]
	s_lshr_b64 s[48:49], s[48:49], 3
	s_mov_b32 s47, s1
	s_mov_b32 s53, s1
	s_sub_co_i32 s49, s8, s52
	s_lshr_b64 s[36:37], s[36:37], 3
	s_add_nc_u64 s[34:35], s[70:71], s[34:35]
	s_add_nc_u64 s[40:41], s[42:43], s[44:45]
	s_mov_b32 s52, s39
	s_mul_u64 s[76:77], s[0:1], s[20:21]
	s_mul_i32 s43, s36, 9
	s_lshr_b64 s[34:35], s[34:35], 3
	s_add_nc_u64 s[36:37], s[80:81], s[40:41]
	s_add_nc_u64 s[38:39], s[46:47], s[52:53]
	s_mul_i32 s41, s34, 9
	s_lshr_b64 s[34:35], s[36:37], 3
	s_add_nc_u64 s[36:37], s[76:77], s[38:39]
	s_lshr_b64 s[92:93], s[100:101], 3
	s_mul_i32 s39, s34, 9
	s_lshr_b64 s[34:35], s[36:37], 3
	s_mul_i32 s33, s92, 9
	s_mul_i32 s34, s34, -9
	s_sub_co_i32 s33, s8, s33
	s_add_co_i32 m0, s8, s34
	s_sub_co_i32 s36, s8, s39
	s_sub_co_i32 s35, s8, s41
	s_mul_i32 s48, s48, 9
	s_sub_co_i32 s38, s8, s43
	s_sub_co_i32 s40, s8, s48
	s_add_nc_u64 s[54:55], s[84:85], s[54:55]
	s_lshr_b64 s[82:83], s[82:83], 3
	s_lshr_b64 s[54:55], s[54:55], 3
	s_mul_i32 s0, s82, 9
	s_mul_i32 s51, s54, 9
	s_sub_co_i32 s0, s8, s0
	s_sub_co_i32 s42, s8, s51
	s_wait_xcnt 0x0
	v_add_nc_u64_e32 v[22:23], 4, v[22:23]
	s_add_nc_u64 s[8:9], s[8:9], 1
	s_add_nc_u64 s[6:7], s[6:7], 1
	s_add_nc_u64 s[10:11], s[10:11], 1
	s_add_nc_u64 s[12:13], s[12:13], 1
	s_add_nc_u64 s[14:15], s[14:15], 1
	s_add_nc_u64 s[22:23], s[22:23], 1
	s_add_nc_u64 s[24:25], s[24:25], 1
	s_add_nc_u64 s[26:27], s[26:27], 1
	s_add_nc_u64 s[28:29], s[28:29], 1
	s_add_nc_u64 s[30:31], s[30:31], 1
	s_wait_loadcnt 0x0
	v_movreld_b32_e32 v2, v13
	s_add_co_i32 m0, s33, 1
	v_movrels_b32_e32 v13, v2
	s_add_co_i32 m0, s36, 2
	v_movrels_b32_e32 v24, v2
	s_add_co_i32 m0, s35, 3
	s_delay_alu instid0(VALU_DEP_2) | instskip(SKIP_4) | instid1(VALU_DEP_2)
	v_fma_f32 v13, v12, v13, 0
	v_movrels_b32_e32 v25, v2
	s_add_co_i32 m0, s38, 4
	v_movrels_b32_e32 v26, v2
	s_add_co_i32 m0, s40, 5
	v_pk_mul_f32 v[24:25], v[18:19], v[24:25]
	v_movrels_b32_e32 v27, v2
	s_add_co_i32 m0, s42, 6
	v_movrels_b32_e32 v28, v2
	s_delay_alu instid0(VALU_DEP_3) | instskip(NEXT) | instid1(VALU_DEP_3)
	v_add_f32_e32 v13, v13, v24
	v_pk_mul_f32 v[26:27], v[14:15], v[26:27]
	s_add_co_i32 m0, s49, 7
	v_movrels_b32_e32 v29, v2
	s_delay_alu instid0(VALU_DEP_3) | instskip(SKIP_2) | instid1(VALU_DEP_3)
	v_add_f32_e32 v13, v13, v25
	s_add_co_i32 m0, s0, 8
	v_movrels_b32_e32 v24, v2
	v_pk_mul_f32 v[28:29], v[20:21], v[28:29]
	s_delay_alu instid0(VALU_DEP_3) | instskip(SKIP_3) | instid1(VALU_DEP_2)
	v_add_f32_e32 v13, v13, v26
	s_add_co_i32 m0, s50, 9
	s_cmp_eq_u64 s[2:3], s[8:9]
	v_movrels_b32_e32 v25, v2
	v_add_f32_e32 v13, v13, v27
	s_delay_alu instid0(VALU_DEP_2) | instskip(NEXT) | instid1(VALU_DEP_2)
	v_pk_mul_f32 v[24:25], v[16:17], v[24:25]
	v_add_f32_e32 v13, v13, v28
	s_delay_alu instid0(VALU_DEP_1) | instskip(NEXT) | instid1(VALU_DEP_1)
	v_add_f32_e32 v13, v13, v29
	v_add_f32_e32 v13, v13, v24
	s_delay_alu instid0(VALU_DEP_1) | instskip(NEXT) | instid1(VALU_DEP_1)
	v_add_f32_e32 v13, v13, v25
	v_add_f32_e32 v13, v11, v13
	s_delay_alu instid0(VALU_DEP_1) | instskip(SKIP_1) | instid1(VALU_DEP_2)
	v_mul_f32_e32 v24, 0xbfb8aa3b, v13
	v_cmp_nlt_f32_e32 vcc_lo, 0x42ce8ed0, v13
	v_fma_f32 v25, 0xbfb8aa3b, v13, -v24
	v_rndne_f32_e32 v26, v24
	s_delay_alu instid0(VALU_DEP_1) | instskip(NEXT) | instid1(VALU_DEP_1)
	v_dual_fmac_f32 v25, 0xb2a5705f, v13 :: v_dual_sub_f32 v24, v24, v26
	v_add_f32_e32 v24, v24, v25
	v_cvt_i32_f32_e32 v25, v26
	s_delay_alu instid0(VALU_DEP_2) | instskip(SKIP_1) | instid1(TRANS32_DEP_1)
	v_exp_f32_e32 v24, v24
	v_nop
	v_ldexp_f32 v24, v24, v25
	s_delay_alu instid0(VALU_DEP_1) | instskip(SKIP_1) | instid1(VALU_DEP_2)
	v_cndmask_b32_e32 v24, 0, v24, vcc_lo
	v_cmp_ngt_f32_e32 vcc_lo, 0xc2b17218, v13
	v_cndmask_b32_e32 v24, 0x7f800000, v24, vcc_lo
	s_delay_alu instid0(VALU_DEP_1) | instskip(NEXT) | instid1(VALU_DEP_1)
	v_add_f32_e32 v24, 1.0, v24
	v_div_scale_f32 v25, null, v24, v24, v13
	v_div_scale_f32 v28, vcc_lo, v13, v24, v13
	s_delay_alu instid0(VALU_DEP_2) | instskip(SKIP_1) | instid1(TRANS32_DEP_1)
	v_rcp_f32_e32 v26, v25
	v_nop
	v_fma_f32 v27, -v25, v26, 1.0
	s_delay_alu instid0(VALU_DEP_1) | instskip(NEXT) | instid1(VALU_DEP_1)
	v_fmac_f32_e32 v26, v27, v26
	v_mul_f32_e32 v27, v28, v26
	s_delay_alu instid0(VALU_DEP_1) | instskip(NEXT) | instid1(VALU_DEP_1)
	v_fma_f32 v29, -v25, v27, v28
	v_fmac_f32_e32 v27, v29, v26
	s_delay_alu instid0(VALU_DEP_1) | instskip(NEXT) | instid1(VALU_DEP_1)
	v_fma_f32 v25, -v25, v27, v28
	v_div_fmas_f32 v25, v25, v26, v27
	s_delay_alu instid0(VALU_DEP_1)
	v_div_fixup_f32 v13, v25, v24, v13
	global_store_b32 v[0:1], v13, off
	s_wait_xcnt 0x0
	v_add_nc_u64_e32 v[0:1], s[4:5], v[0:1]
	s_cbranch_scc0 .LBB6_5
.LBB6_6:
	s_endpgm
	.section	.rodata,"a",@progbits
	.p2align	6, 0x0
	.amdhsa_kernel _ZL12ssm_conv_f32ILb1ELm128ELm9EEvPKfS1_S1_iiiiPfiiil
		.amdhsa_group_segment_fixed_size 0
		.amdhsa_private_segment_fixed_size 0
		.amdhsa_kernarg_size 72
		.amdhsa_user_sgpr_count 2
		.amdhsa_user_sgpr_dispatch_ptr 0
		.amdhsa_user_sgpr_queue_ptr 0
		.amdhsa_user_sgpr_kernarg_segment_ptr 1
		.amdhsa_user_sgpr_dispatch_id 0
		.amdhsa_user_sgpr_kernarg_preload_length 0
		.amdhsa_user_sgpr_kernarg_preload_offset 0
		.amdhsa_user_sgpr_private_segment_size 0
		.amdhsa_wavefront_size32 1
		.amdhsa_uses_dynamic_stack 0
		.amdhsa_enable_private_segment 0
		.amdhsa_system_sgpr_workgroup_id_x 1
		.amdhsa_system_sgpr_workgroup_id_y 1
		.amdhsa_system_sgpr_workgroup_id_z 0
		.amdhsa_system_sgpr_workgroup_info 0
		.amdhsa_system_vgpr_workitem_id 0
		.amdhsa_next_free_vgpr 30
		.amdhsa_next_free_sgpr 104
		.amdhsa_named_barrier_count 0
		.amdhsa_reserve_vcc 1
		.amdhsa_float_round_mode_32 0
		.amdhsa_float_round_mode_16_64 0
		.amdhsa_float_denorm_mode_32 3
		.amdhsa_float_denorm_mode_16_64 3
		.amdhsa_fp16_overflow 0
		.amdhsa_memory_ordered 1
		.amdhsa_forward_progress 1
		.amdhsa_inst_pref_size 18
		.amdhsa_round_robin_scheduling 0
		.amdhsa_exception_fp_ieee_invalid_op 0
		.amdhsa_exception_fp_denorm_src 0
		.amdhsa_exception_fp_ieee_div_zero 0
		.amdhsa_exception_fp_ieee_overflow 0
		.amdhsa_exception_fp_ieee_underflow 0
		.amdhsa_exception_fp_ieee_inexact 0
		.amdhsa_exception_int_div_zero 0
	.end_amdhsa_kernel
	.section	.text._ZL12ssm_conv_f32ILb1ELm128ELm9EEvPKfS1_S1_iiiiPfiiil,"axG",@progbits,_ZL12ssm_conv_f32ILb1ELm128ELm9EEvPKfS1_S1_iiiiPfiiil,comdat
.Lfunc_end6:
	.size	_ZL12ssm_conv_f32ILb1ELm128ELm9EEvPKfS1_S1_iiiiPfiiil, .Lfunc_end6-_ZL12ssm_conv_f32ILb1ELm128ELm9EEvPKfS1_S1_iiiiPfiiil
                                        ; -- End function
	.set _ZL12ssm_conv_f32ILb1ELm128ELm9EEvPKfS1_S1_iiiiPfiiil.num_vgpr, 30
	.set _ZL12ssm_conv_f32ILb1ELm128ELm9EEvPKfS1_S1_iiiiPfiiil.num_agpr, 0
	.set _ZL12ssm_conv_f32ILb1ELm128ELm9EEvPKfS1_S1_iiiiPfiiil.numbered_sgpr, 104
	.set _ZL12ssm_conv_f32ILb1ELm128ELm9EEvPKfS1_S1_iiiiPfiiil.num_named_barrier, 0
	.set _ZL12ssm_conv_f32ILb1ELm128ELm9EEvPKfS1_S1_iiiiPfiiil.private_seg_size, 0
	.set _ZL12ssm_conv_f32ILb1ELm128ELm9EEvPKfS1_S1_iiiiPfiiil.uses_vcc, 1
	.set _ZL12ssm_conv_f32ILb1ELm128ELm9EEvPKfS1_S1_iiiiPfiiil.uses_flat_scratch, 0
	.set _ZL12ssm_conv_f32ILb1ELm128ELm9EEvPKfS1_S1_iiiiPfiiil.has_dyn_sized_stack, 0
	.set _ZL12ssm_conv_f32ILb1ELm128ELm9EEvPKfS1_S1_iiiiPfiiil.has_recursion, 0
	.set _ZL12ssm_conv_f32ILb1ELm128ELm9EEvPKfS1_S1_iiiiPfiiil.has_indirect_call, 0
	.section	.AMDGPU.csdata,"",@progbits
; Kernel info:
; codeLenInByte = 2300
; TotalNumSgprs: 106
; NumVgprs: 30
; ScratchSize: 0
; MemoryBound: 0
; FloatMode: 240
; IeeeMode: 1
; LDSByteSize: 0 bytes/workgroup (compile time only)
; SGPRBlocks: 0
; VGPRBlocks: 1
; NumSGPRsForWavesPerEU: 106
; NumVGPRsForWavesPerEU: 30
; NamedBarCnt: 0
; Occupancy: 16
; WaveLimiterHint : 0
; COMPUTE_PGM_RSRC2:SCRATCH_EN: 0
; COMPUTE_PGM_RSRC2:USER_SGPR: 2
; COMPUTE_PGM_RSRC2:TRAP_HANDLER: 0
; COMPUTE_PGM_RSRC2:TGID_X_EN: 1
; COMPUTE_PGM_RSRC2:TGID_Y_EN: 1
; COMPUTE_PGM_RSRC2:TGID_Z_EN: 0
; COMPUTE_PGM_RSRC2:TIDIG_COMP_CNT: 0
	.section	.text._ZL23ssm_conv_long_token_f32ILb1ELm128ELm9ELl32EEvPKfS1_S1_iiiiPfiiil,"axG",@progbits,_ZL23ssm_conv_long_token_f32ILb1ELm128ELm9ELl32EEvPKfS1_S1_iiiiPfiiil,comdat
	.globl	_ZL23ssm_conv_long_token_f32ILb1ELm128ELm9ELl32EEvPKfS1_S1_iiiiPfiiil ; -- Begin function _ZL23ssm_conv_long_token_f32ILb1ELm128ELm9ELl32EEvPKfS1_S1_iiiiPfiiil
	.p2align	8
	.type	_ZL23ssm_conv_long_token_f32ILb1ELm128ELm9ELl32EEvPKfS1_S1_iiiiPfiiil,@function
_ZL23ssm_conv_long_token_f32ILb1ELm128ELm9ELl32EEvPKfS1_S1_iiiiPfiiil: ; @_ZL23ssm_conv_long_token_f32ILb1ELm128ELm9ELl32EEvPKfS1_S1_iiiiPfiiil
; %bb.0:
	v_mul_u32_u24_e32 v1, 0x667, v0
	s_bfe_u32 s3, ttmp6, 0x40010
	s_and_b32 s2, ttmp7, 0xffff
	s_add_co_i32 s3, s3, 1
	s_bfe_u32 s8, ttmp6, 0x40004
	v_lshrrev_b32_e32 v7, 16, v1
	s_mul_i32 s3, s2, s3
	s_getreg_b32 s9, hwreg(HW_REG_IB_STS2, 6, 4)
	s_add_co_i32 s8, s8, s3
	s_clause 0x1
	s_load_b64 s[10:11], s[0:1], 0x0
	s_load_b128 s[4:7], s[0:1], 0x18
	v_mul_lo_u16 v1, v7, 40
	s_cmp_eq_u32 s9, 0
	s_cselect_b32 s2, s2, s8
	s_bfe_u32 s3, ttmp6, 0x40014
	s_delay_alu instid0(VALU_DEP_1)
	v_sub_nc_u16 v10, v0, v1
	s_lshr_b32 s8, ttmp7, 16
	s_add_co_i32 s3, s3, 1
	s_bfe_u32 s12, ttmp6, 0x40008
	s_mul_i32 s13, s8, s3
	v_or_b32_e32 v1, 0x80, v10
	v_and_b32_e32 v28, 0xffff, v10
	s_add_co_i32 s12, s12, s13
	s_cmp_eq_u32 s9, 0
	s_mov_b32 s3, 0
	v_mul_lo_u16 v2, 0xcd, v1
	s_cselect_b32 s8, s8, s12
	s_bfe_u32 s12, ttmp6, 0x4000c
	s_and_b32 s15, ttmp6, 15
	s_add_co_i32 s12, s12, 1
	v_lshrrev_b16 v14, 13, v2
	s_mul_i32 s12, ttmp9, s12
	s_wait_kmcnt 0x0
	s_mov_b32 s18, s4
	s_add_co_i32 s15, s15, s12
	s_cmp_eq_u32 s9, 0
	v_mul_lo_u16 v2, v14, 40
	v_and_b32_e32 v14, 0xffff, v14
	s_cselect_b32 s16, ttmp9, s15
	s_lshl_b32 s12, s8, 5
	s_ashr_i32 s8, s5, 2
	v_sub_nc_u16 v1, v1, v2
	s_ashr_i32 s19, s4, 31
	s_mul_i32 s4, s6, s16
	s_mov_b32 s14, s5
	s_lshl_b32 s2, s2, 7
	v_and_b32_e32 v8, 0xff, v1
	s_ashr_i32 s15, s5, 31
	s_ashr_i32 s5, s4, 31
	s_mov_b32 s13, s3
	s_mul_u64 s[14:15], s[2:3], s[14:15]
	v_or_b32_e32 v1, 0x80, v8
	s_add_nc_u64 s[4:5], s[10:11], s[4:5]
	s_mul_u64 s[18:19], s[12:13], s[18:19]
	s_add_nc_u64 s[4:5], s[4:5], s[14:15]
	s_mov_b32 s6, exec_lo
	v_mul_lo_u16 v2, 0xcd, v1
	s_add_nc_u64 s[4:5], s[4:5], s[18:19]
	s_delay_alu instid0(VALU_DEP_1) | instskip(NEXT) | instid1(VALU_DEP_1)
	v_lshrrev_b16 v15, 13, v2
	v_mul_lo_u16 v2, v15, 40
	s_delay_alu instid0(VALU_DEP_1) | instskip(NEXT) | instid1(VALU_DEP_1)
	v_sub_nc_u16 v1, v1, v2
	v_and_b32_e32 v9, 0xff, v1
	s_delay_alu instid0(VALU_DEP_1) | instskip(NEXT) | instid1(VALU_DEP_1)
	v_or_b32_e32 v1, 0x80, v9
	v_mul_lo_u16 v2, 0xcd, v1
	s_delay_alu instid0(VALU_DEP_1) | instskip(NEXT) | instid1(VALU_DEP_1)
	v_lshrrev_b16 v16, 13, v2
	v_mul_lo_u16 v2, v16, 40
	s_delay_alu instid0(VALU_DEP_1) | instskip(NEXT) | instid1(VALU_DEP_1)
	v_sub_nc_u16 v1, v1, v2
	v_and_b32_e32 v11, 0xff, v1
	s_delay_alu instid0(VALU_DEP_1) | instskip(NEXT) | instid1(VALU_DEP_1)
	v_or_b32_e32 v1, 0x80, v11
	v_mul_lo_u16 v2, 0xcd, v1
	s_delay_alu instid0(VALU_DEP_1) | instskip(NEXT) | instid1(VALU_DEP_1)
	v_lshrrev_b16 v17, 13, v2
	v_mul_lo_u16 v2, v17, 40
	v_and_b32_e32 v17, 0xffff, v17
	v_add_nc_u32_e32 v30, v7, v14
	v_and_b32_e32 v14, 0xffff, v15
	s_delay_alu instid0(VALU_DEP_4) | instskip(NEXT) | instid1(VALU_DEP_2)
	v_sub_nc_u16 v1, v1, v2
	v_add_nc_u32_e32 v31, v30, v14
	v_and_b32_e32 v14, 0xffff, v16
	s_delay_alu instid0(VALU_DEP_3)
	v_and_b32_e32 v12, 0xff, v1
	v_mad_u32 v23, s8, v7, v28
	v_lshlrev_b32_e32 v28, 2, v28
	v_mul_u32_u24_e32 v7, 0xa0, v7
	v_add_nc_u32_e32 v33, v31, v14
	v_or_b32_e32 v1, 0x80, v12
	s_delay_alu instid0(VALU_DEP_3) | instskip(NEXT) | instid1(VALU_DEP_3)
	v_add3_u32 v7, 0, v7, v28
	v_add_nc_u32_e32 v35, v33, v17
	s_delay_alu instid0(VALU_DEP_3)
	v_mul_lo_u16 v2, 0xcd, v1
	v_mad_u32 v16, v30, s8, v8
	global_load_b32 v32, v23, s[4:5] scale_offset
	v_mul_u32_u24_e32 v28, 0xa0, v30
	v_lshlrev_b32_e32 v8, 2, v8
	v_lshrrev_b16 v19, 13, v2
	s_delay_alu instid0(VALU_DEP_2) | instskip(NEXT) | instid1(VALU_DEP_2)
	v_add3_u32 v8, 0, v28, v8
	v_mul_lo_u16 v2, v19, 40
	v_and_b32_e32 v17, 0xffff, v19
	global_load_b32 v36, v16, s[4:5] scale_offset
	v_sub_nc_u16 v1, v1, v2
	v_add_nc_u32_e32 v41, v35, v17
	s_delay_alu instid0(VALU_DEP_2) | instskip(NEXT) | instid1(VALU_DEP_1)
	v_and_b32_e32 v13, 0xff, v1
	v_or_b32_e32 v1, 0x80, v13
	s_delay_alu instid0(VALU_DEP_1) | instskip(NEXT) | instid1(VALU_DEP_1)
	v_mul_lo_u16 v2, 0xcd, v1
	v_lshrrev_b16 v18, 13, v2
	s_delay_alu instid0(VALU_DEP_1) | instskip(SKIP_1) | instid1(VALU_DEP_2)
	v_mul_lo_u16 v2, v18, 40
	v_and_b32_e32 v18, 0xffff, v18
	v_sub_nc_u16 v1, v1, v2
	s_delay_alu instid0(VALU_DEP_2) | instskip(NEXT) | instid1(VALU_DEP_2)
	v_add_nc_u32_e32 v18, v41, v18
	v_and_b32_e32 v2, 0xff, v1
	s_delay_alu instid0(VALU_DEP_1) | instskip(NEXT) | instid1(VALU_DEP_1)
	v_or_b32_e32 v1, 0x80, v2
	v_mul_lo_u16 v3, 0xcd, v1
	s_delay_alu instid0(VALU_DEP_1) | instskip(NEXT) | instid1(VALU_DEP_1)
	v_lshrrev_b16 v21, 13, v3
	v_mul_lo_u16 v3, v21, 40
	v_and_b32_e32 v21, 0xffff, v21
	s_delay_alu instid0(VALU_DEP_2) | instskip(NEXT) | instid1(VALU_DEP_1)
	v_sub_nc_u16 v1, v1, v3
	v_and_b32_e32 v1, 0xff, v1
	s_delay_alu instid0(VALU_DEP_1) | instskip(NEXT) | instid1(VALU_DEP_1)
	v_or_b32_e32 v3, 0x80, v1
	v_mul_lo_u16 v4, 0xcd, v3
	s_delay_alu instid0(VALU_DEP_1) | instskip(NEXT) | instid1(VALU_DEP_1)
	v_lshrrev_b16 v22, 13, v4
	v_mul_lo_u16 v4, v22, 40
	v_and_b32_e32 v22, 0xffff, v22
	s_delay_alu instid0(VALU_DEP_2) | instskip(NEXT) | instid1(VALU_DEP_1)
	v_sub_nc_u16 v3, v3, v4
	v_and_b32_e32 v3, 0xff, v3
	s_delay_alu instid0(VALU_DEP_1) | instskip(NEXT) | instid1(VALU_DEP_1)
	v_or_b32_e32 v4, 0x80, v3
	v_mul_lo_u16 v5, 0xcd, v4
	s_delay_alu instid0(VALU_DEP_1) | instskip(NEXT) | instid1(VALU_DEP_1)
	v_lshrrev_b16 v24, 13, v5
	v_mul_lo_u16 v5, v24, 40
	v_and_b32_e32 v24, 0xffff, v24
	s_delay_alu instid0(VALU_DEP_2) | instskip(NEXT) | instid1(VALU_DEP_1)
	v_sub_nc_u16 v4, v4, v5
	v_and_b32_e32 v4, 0xff, v4
	s_delay_alu instid0(VALU_DEP_1) | instskip(NEXT) | instid1(VALU_DEP_1)
	v_or_b32_e32 v5, 0x80, v4
	v_mul_lo_u16 v6, 0xcd, v5
	s_delay_alu instid0(VALU_DEP_1) | instskip(NEXT) | instid1(VALU_DEP_1)
	v_lshrrev_b16 v26, 13, v6
	v_mul_lo_u16 v6, v26, 40
	v_and_b32_e32 v26, 0xffff, v26
	s_delay_alu instid0(VALU_DEP_2) | instskip(NEXT) | instid1(VALU_DEP_1)
	v_sub_nc_u16 v5, v5, v6
	v_and_b32_e32 v5, 0xff, v5
	s_delay_alu instid0(VALU_DEP_1) | instskip(NEXT) | instid1(VALU_DEP_1)
	v_or_b32_e32 v6, 0x80, v5
	v_mul_lo_u16 v20, 0xcd, v6
	s_delay_alu instid0(VALU_DEP_1) | instskip(NEXT) | instid1(VALU_DEP_1)
	v_lshrrev_b16 v27, 13, v20
	v_mul_lo_u16 v20, v27, 40
	v_and_b32_e32 v27, 0xffff, v27
	s_delay_alu instid0(VALU_DEP_2) | instskip(NEXT) | instid1(VALU_DEP_1)
	v_sub_nc_u16 v6, v6, v20
	v_and_b32_e32 v6, 0xff, v6
	s_delay_alu instid0(VALU_DEP_1) | instskip(NEXT) | instid1(VALU_DEP_1)
	v_or_b32_e32 v20, 0x80, v6
	v_mul_lo_u16 v10, 0xcd, v20
	s_delay_alu instid0(VALU_DEP_1) | instskip(NEXT) | instid1(VALU_DEP_1)
	v_lshrrev_b16 v29, 13, v10
	v_mul_lo_u16 v10, v29, 40
	v_and_b32_e32 v29, 0xffff, v29
	s_delay_alu instid0(VALU_DEP_2)
	v_sub_nc_u16 v10, v20, v10
	v_mad_u32 v20, v31, s8, v9
	v_mul_u32_u24_e32 v31, 0xa0, v31
	v_lshlrev_b32_e32 v9, 2, v9
	v_add_nc_u32_e32 v21, v18, v21
	v_and_b32_e32 v10, 0xff, v10
	s_delay_alu instid0(VALU_DEP_3) | instskip(SKIP_1) | instid1(VALU_DEP_3)
	v_add3_u32 v9, 0, v31, v9
	v_mul_u32_u24_e32 v31, 0xa0, v33
	v_or_b32_e32 v15, 0x80, v10
	global_load_b32 v37, v20, s[4:5] scale_offset
	s_wait_xcnt 0x1
	v_mad_u32 v16, v35, s8, v12
	v_lshlrev_b32_e32 v12, 2, v12
	v_mul_lo_u16 v14, 0xcd, v15
	s_delay_alu instid0(VALU_DEP_1)
	v_lshrrev_b16 v34, 13, v14
	global_load_b32 v39, v16, s[4:5] scale_offset
	v_mad_u32 v23, v33, s8, v11
	v_mul_lo_u16 v14, v34, 40
	v_dual_lshlrev_b32 v11, 2, v11 :: v_dual_add_nc_u32 v22, v21, v22
	v_mul_u32_u24_e32 v33, 0xa0, v35
	v_and_b32_e32 v34, 0xffff, v34
	s_delay_alu instid0(VALU_DEP_4) | instskip(NEXT) | instid1(VALU_DEP_4)
	v_sub_nc_u16 v14, v15, v14
	v_add3_u32 v11, 0, v31, v11
	v_add_nc_u32_e32 v24, v22, v24
	v_add3_u32 v12, 0, v33, v12
	v_mul_u32_u24_e32 v33, 0xa0, v41
	global_load_b32 v38, v23, s[4:5] scale_offset
	v_and_b32_e32 v14, 0xff, v14
	s_delay_alu instid0(VALU_DEP_1) | instskip(SKIP_1) | instid1(VALU_DEP_1)
	v_or_b32_e32 v15, 0x80, v14
	s_wait_xcnt 0x1
	v_mul_lo_u16 v16, 0xcd, v15
	s_delay_alu instid0(VALU_DEP_1) | instskip(NEXT) | instid1(VALU_DEP_1)
	v_lshrrev_b16 v40, 13, v16
	v_mul_lo_u16 v16, v40, 40
	v_and_b32_e32 v40, 0xffff, v40
	s_delay_alu instid0(VALU_DEP_2) | instskip(SKIP_3) | instid1(VALU_DEP_4)
	v_sub_nc_u16 v15, v15, v16
	v_mad_u32 v16, v41, s8, v13
	v_dual_lshlrev_b32 v13, 2, v13 :: v_dual_add_nc_u32 v26, v24, v26
	v_mad_u32 v41, v18, s8, v2
	v_and_b32_e32 v15, 0xff, v15
	v_mad_u32 v53, v24, s8, v4
	s_delay_alu instid0(VALU_DEP_4)
	v_add3_u32 v13, 0, v33, v13
	v_add_nc_u32_e32 v27, v26, v27
	v_mul_lo_u32 v18, 0xa0, v18
	v_or_b32_e32 v17, 0x80, v15
	v_lshlrev_b32_e32 v2, 2, v2
	global_load_b32 v25, v16, s[4:5] scale_offset
	v_add_nc_u32_e32 v29, v27, v29
	v_mad_u32 v55, v26, s8, v5
	v_mul_lo_u16 v19, 0xcd, v17
	s_delay_alu instid0(VALU_DEP_3) | instskip(SKIP_1) | instid1(VALU_DEP_3)
	v_dual_lshlrev_b32 v4, 2, v4 :: v_dual_add_nc_u32 v34, v29, v34
	v_mad_u32 v56, v27, s8, v6
	v_lshrrev_b16 v42, 13, v19
	s_delay_alu instid0(VALU_DEP_3) | instskip(SKIP_1) | instid1(VALU_DEP_2)
	v_add_nc_u32_e32 v40, v34, v40
	s_wait_xcnt 0x0
	v_mul_lo_u16 v16, v42, 40
	v_and_b32_e32 v42, 0xffff, v42
	s_delay_alu instid0(VALU_DEP_2) | instskip(NEXT) | instid1(VALU_DEP_1)
	v_sub_nc_u16 v16, v17, v16
	v_and_b32_e32 v16, 0xff, v16
	s_delay_alu instid0(VALU_DEP_1) | instskip(NEXT) | instid1(VALU_DEP_1)
	v_or_b32_e32 v17, 0x80, v16
	v_mul_lo_u16 v19, 0xcd, v17
	s_delay_alu instid0(VALU_DEP_1) | instskip(NEXT) | instid1(VALU_DEP_1)
	v_lshrrev_b16 v43, 13, v19
	v_mul_lo_u16 v19, v43, 40
	s_delay_alu instid0(VALU_DEP_1) | instskip(NEXT) | instid1(VALU_DEP_1)
	v_sub_nc_u16 v17, v17, v19
	v_and_b32_e32 v17, 0xff, v17
	s_delay_alu instid0(VALU_DEP_1) | instskip(NEXT) | instid1(VALU_DEP_1)
	v_or_b32_e32 v19, 0x80, v17
	v_mul_lo_u16 v20, 0xcd, v19
	s_delay_alu instid0(VALU_DEP_1) | instskip(NEXT) | instid1(VALU_DEP_1)
	v_lshrrev_b16 v44, 13, v20
	v_mul_lo_u16 v20, v44, 40
	v_and_b32_e32 v44, 0xffff, v44
	s_delay_alu instid0(VALU_DEP_2) | instskip(NEXT) | instid1(VALU_DEP_1)
	v_sub_nc_u16 v19, v19, v20
	v_and_b32_e32 v19, 0xff, v19
	s_delay_alu instid0(VALU_DEP_1) | instskip(NEXT) | instid1(VALU_DEP_1)
	v_or_b32_e32 v20, 0x80, v19
	v_mul_lo_u16 v23, 0xcd, v20
	s_delay_alu instid0(VALU_DEP_1) | instskip(NEXT) | instid1(VALU_DEP_1)
	v_lshrrev_b16 v45, 13, v23
	v_mul_lo_u16 v23, v45, 40
	s_delay_alu instid0(VALU_DEP_1) | instskip(NEXT) | instid1(VALU_DEP_1)
	v_sub_nc_u16 v20, v20, v23
	v_and_b32_e32 v20, 0xff, v20
	s_delay_alu instid0(VALU_DEP_1) | instskip(NEXT) | instid1(VALU_DEP_1)
	v_or_b32_e32 v23, 0x80, v20
	v_mul_lo_u16 v46, 0xcd, v23
	s_delay_alu instid0(VALU_DEP_1) | instskip(NEXT) | instid1(VALU_DEP_1)
	v_lshrrev_b16 v46, 13, v46
	v_mul_lo_u16 v47, v46, 40
	s_delay_alu instid0(VALU_DEP_1) | instskip(NEXT) | instid1(VALU_DEP_1)
	;; [unrolled: 9-line block ×4, first 2 shown]
	v_sub_nc_u16 v49, v49, v51
	v_and_b32_e32 v49, 0xff, v49
	s_delay_alu instid0(VALU_DEP_1) | instskip(NEXT) | instid1(VALU_DEP_1)
	v_or_b32_e32 v51, 0x80, v49
	v_mul_lo_u16 v52, 0xcd, v51
	s_delay_alu instid0(VALU_DEP_1) | instskip(NEXT) | instid1(VALU_DEP_1)
	v_lshrrev_b16 v30, 13, v52
	v_mul_lo_u16 v52, v30, 40
	v_and_b32_e32 v30, 0xffff, v30
	s_delay_alu instid0(VALU_DEP_2)
	v_sub_nc_u16 v28, v51, v52
	v_mad_u32 v51, v21, s8, v1
	v_mad_u32 v52, v22, s8, v3
	v_lshlrev_b32_e32 v1, 2, v1
	v_add3_u32 v2, 0, v18, v2
	v_and_b32_e32 v28, 0xff, v28
	v_lshlrev_b32_e32 v3, 2, v3
	s_delay_alu instid0(VALU_DEP_2) | instskip(NEXT) | instid1(VALU_DEP_1)
	v_or_b32_e32 v31, 0x80, v28
	v_mul_lo_u16 v35, 0xcd, v31
	s_delay_alu instid0(VALU_DEP_1) | instskip(NEXT) | instid1(VALU_DEP_1)
	v_lshrrev_b16 v35, 13, v35
	v_mul_lo_u16 v54, v35, 40
	v_and_b32_e32 v35, 0xffff, v35
	s_delay_alu instid0(VALU_DEP_2)
	v_sub_nc_u16 v31, v31, v54
	s_clause 0x1
	global_load_b32 v54, v41, s[4:5] scale_offset
	global_load_b32 v57, v51, s[4:5] scale_offset
	s_wait_loadcnt 0x7
	ds_store_b32 v7, v32
	v_add_nc_u32_e32 v7, v40, v42
	v_and_b32_e32 v32, 0xffff, v43
	v_and_b32_e32 v31, 0xff, v31
	s_clause 0x3
	global_load_b32 v41, v52, s[4:5] scale_offset
	global_load_b32 v42, v53, s[4:5] scale_offset
	;; [unrolled: 1-line block ×4, first 2 shown]
	s_wait_loadcnt 0xa
	ds_store_b32 v8, v36
	s_wait_loadcnt 0x9
	ds_store_b32 v9, v37
	v_and_b32_e32 v37, 0xffff, v45
	s_wait_xcnt 0x2
	v_or_b32_e32 v53, 0x80, v31
	v_mad_u32 v52, v29, s8, v10
	v_mad_u32 v8, v34, s8, v14
	s_delay_alu instid0(VALU_DEP_3) | instskip(NEXT) | instid1(VALU_DEP_1)
	v_mul_lo_u16 v9, 0xcd, v53
	v_lshrrev_b16 v9, 13, v9
	s_wait_loadcnt 0x7
	ds_store_b32 v11, v38
	v_and_b32_e32 v38, 0xffff, v46
	v_add_nc_u32_e32 v32, v7, v32
	v_and_b32_e32 v46, 0xffff, v48
	ds_store_b32 v12, v39
	v_mul_lo_u16 v12, v9, 40
	v_mad_u32 v11, v7, s8, v16
	v_add_nc_u32_e32 v36, v32, v44
	v_and_b32_e32 v9, 0xffff, v9
	s_delay_alu instid0(VALU_DEP_4) | instskip(NEXT) | instid1(VALU_DEP_3)
	v_sub_nc_u16 v12, v53, v12
	v_add_nc_u32_e32 v37, v36, v37
	v_mad_u32 v44, v40, s8, v15
	s_clause 0x3
	global_load_b32 v48, v52, s[4:5] scale_offset
	global_load_b32 v53, v8, s[4:5] scale_offset
	;; [unrolled: 1-line block ×4, first 2 shown]
	v_add_nc_u32_e32 v38, v37, v38
	s_wait_xcnt 0x0
	v_and_b32_e32 v11, 0xff, v12
	v_and_b32_e32 v12, 0xffff, v50
	v_mad_u32 v39, v32, s8, v17
	v_add_nc_u32_e32 v8, v38, v46
	v_mad_u32 v45, v36, s8, v19
	s_clause 0x1
	global_load_b32 v44, v39, s[4:5] scale_offset
	global_load_b32 v46, v45, s[4:5] scale_offset
	v_add_nc_u32_e32 v12, v8, v12
	s_wait_xcnt 0x0
	v_or_b32_e32 v45, 0x80, v11
	v_mad_u32 v39, v37, s8, v20
	v_mad_u32 v50, v38, s8, v23
	;; [unrolled: 1-line block ×3, first 2 shown]
	v_add_nc_u32_e32 v30, v12, v30
	v_mul_lo_u16 v58, 0xcd, v45
	s_delay_alu instid0(VALU_DEP_2) | instskip(NEXT) | instid1(VALU_DEP_2)
	v_add_nc_u32_e32 v33, v30, v35
	v_lshrrev_b16 v58, 13, v58
	s_delay_alu instid0(VALU_DEP_2) | instskip(SKIP_1) | instid1(VALU_DEP_3)
	v_add_nc_u32_e32 v9, v33, v9
	v_mad_u32 v59, v12, s8, v49
	v_mul_lo_u16 v35, v58, 40
	s_clause 0x3
	global_load_b32 v60, v39, s[4:5] scale_offset
	global_load_b32 v61, v50, s[4:5] scale_offset
	;; [unrolled: 1-line block ×4, first 2 shown]
	s_wait_xcnt 0x3
	v_and_b32_e32 v39, 0xffff, v58
	v_sub_nc_u16 v35, v45, v35
	s_wait_loadcnt 0x10
	ds_store_b32 v13, v25
	v_add_nc_u32_e32 v13, v9, v39
	v_and_b32_e32 v25, 0xff, v35
	v_mad_u32 v18, v30, s8, v28
	v_mad_u32 v35, v33, s8, v31
	;; [unrolled: 1-line block ×3, first 2 shown]
	s_delay_alu instid0(VALU_DEP_4)
	v_mad_u32 v45, v13, s8, v25
	s_clause 0x3
	global_load_b32 v50, v18, s[4:5] scale_offset
	global_load_b32 v52, v35, s[4:5] scale_offset
	;; [unrolled: 1-line block ×4, first 2 shown]
	s_wait_xcnt 0x3
	v_mul_lo_u32 v18, 0xa0, v21
	v_mul_lo_u32 v21, 0xa0, v22
	;; [unrolled: 1-line block ×4, first 2 shown]
	s_delay_alu instid0(VALU_DEP_4)
	v_add3_u32 v1, 0, v18, v1
	v_mul_lo_u32 v18, 0xa0, v27
	s_wait_loadcnt 0x13
	ds_store_b32 v2, v54
	v_add3_u32 v2, 0, v21, v3
	v_lshlrev_b32_e32 v3, 2, v5
	s_wait_loadcnt 0x12
	ds_store_b32 v1, v57
	v_add3_u32 v1, 0, v22, v4
	v_lshlrev_b32_e32 v4, 2, v6
	s_wait_loadcnt 0x11
	ds_store_b32 v2, v41
	v_add3_u32 v2, 0, v24, v3
	v_mul_lo_u32 v3, 0xa0, v29
	s_wait_loadcnt 0x10
	ds_store_b32 v1, v42
	v_add3_u32 v1, 0, v18, v4
	v_mul_lo_u32 v4, 0xa0, v34
	v_mul_lo_u32 v5, 0xa0, v40
	v_mul_lo_u32 v6, 0xa0, v7
	s_wait_loadcnt 0xf
	ds_store_b32 v2, v43
	v_dual_lshlrev_b32 v2, 2, v10 :: v_dual_lshlrev_b32 v7, 2, v15
	s_wait_loadcnt 0xe
	ds_store_b32 v1, v51
	v_lshlrev_b32_e32 v1, 2, v14
	v_mul_lo_u32 v10, 0xa0, v32
	v_add3_u32 v2, 0, v3, v2
	v_lshlrev_b32_e32 v3, 2, v16
	s_delay_alu instid0(VALU_DEP_4)
	v_add3_u32 v1, 0, v4, v1
	v_add3_u32 v4, 0, v5, v7
	v_mul_lo_u32 v5, 0xa0, v36
	v_lshlrev_b32_e32 v7, 2, v23
	s_wait_loadcnt 0xd
	ds_store_b32 v2, v48
	v_add3_u32 v2, 0, v6, v3
	v_lshlrev_b32_e32 v3, 2, v17
	s_wait_loadcnt 0xc
	ds_store_b32 v1, v53
	s_wait_loadcnt 0xb
	ds_store_b32 v4, v55
	v_lshlrev_b32_e32 v1, 2, v19
	v_mul_lo_u32 v4, 0xa0, v38
	s_wait_loadcnt 0xa
	ds_store_b32 v2, v56
	v_add3_u32 v2, 0, v10, v3
	v_mul_lo_u32 v3, 0xa0, v37
	v_add3_u32 v1, 0, v5, v1
	v_mul_lo_u32 v5, 0xa0, v8
	v_mul_lo_u32 v6, 0xa0, v12
	v_lshlrev_b32_e32 v8, 2, v49
	v_lshlrev_b32_e32 v10, 2, v25
	s_wait_loadcnt 0x9
	ds_store_b32 v2, v44
	v_lshlrev_b32_e32 v2, 2, v20
	s_wait_loadcnt 0x8
	ds_store_b32 v1, v46
	v_lshlrev_b32_e32 v1, 2, v47
	v_add3_u32 v2, 0, v3, v2
	v_add3_u32 v3, 0, v4, v7
	v_or_b32_e32 v4, 0x80, v25
	s_delay_alu instid0(VALU_DEP_4)
	v_add3_u32 v1, 0, v5, v1
	v_add3_u32 v5, 0, v6, v8
	v_mul_lo_u32 v6, 0xa0, v30
	v_lshlrev_b32_e32 v8, 2, v31
	v_mul_lo_u32 v7, 0xa0, v13
	s_wait_loadcnt 0x7
	ds_store_b32 v2, v60
	v_mul_lo_u16 v2, 0xcd, v4
	s_wait_loadcnt 0x6
	ds_store_b32 v3, v61
	s_wait_loadcnt 0x5
	ds_store_b32 v1, v62
	;; [unrolled: 2-line block ×3, first 2 shown]
	v_lshlrev_b32_e32 v1, 2, v28
	v_mul_lo_u32 v3, 0xa0, v33
	v_lshrrev_b16 v2, 13, v2
	v_mul_lo_u32 v5, 0xa0, v9
	v_lshlrev_b32_e32 v9, 2, v11
	v_add3_u32 v6, 0, v6, v1
	v_add3_u32 v7, 0, v7, v10
	v_mul_lo_u16 v1, v2, 40
	v_and_b32_e32 v2, 0xffff, v2
	s_delay_alu instid0(VALU_DEP_2) | instskip(NEXT) | instid1(VALU_DEP_2)
	v_sub_nc_u16 v4, v4, v1
	v_add_nc_u32_e32 v1, v13, v2
	v_add3_u32 v3, 0, v3, v8
	v_add3_u32 v5, 0, v5, v9
	s_wait_loadcnt 0x3
	ds_store_b32 v6, v50
	s_wait_loadcnt 0x2
	ds_store_b32 v3, v52
	;; [unrolled: 2-line block ×4, first 2 shown]
	v_and_b32_e32 v2, 0xff, v4
	v_cmpx_gt_u32_e32 0x80, v1
	s_cbranch_execz .LBB7_2
; %bb.1:
	s_delay_alu instid0(VALU_DEP_2)
	v_mad_u32 v3, v1, s8, v2
	v_mul_lo_u32 v4, 0xa0, v1
	v_lshlrev_b32_e32 v5, 2, v2
	global_load_b32 v3, v3, s[4:5] scale_offset
	v_add3_u32 v4, 0, v4, v5
	s_wait_loadcnt 0x0
	ds_store_b32 v4, v3
.LBB7_2:
	s_or_b32 exec_lo, exec_lo, s6
	s_delay_alu instid0(VALU_DEP_2) | instskip(SKIP_1) | instid1(VALU_DEP_1)
	v_or_b32_e32 v2, 0x80, v2
	s_mov_b32 s6, exec_lo
	v_mul_lo_u16 v3, 0xcd, v2
	s_delay_alu instid0(VALU_DEP_1) | instskip(NEXT) | instid1(VALU_DEP_1)
	v_lshrrev_b16 v3, 13, v3
	v_mul_lo_u16 v4, v3, 40
	v_and_b32_e32 v3, 0xffff, v3
	s_delay_alu instid0(VALU_DEP_2) | instskip(NEXT) | instid1(VALU_DEP_2)
	v_sub_nc_u16 v2, v2, v4
	v_add_nc_u32_e32 v1, v1, v3
	s_delay_alu instid0(VALU_DEP_2) | instskip(NEXT) | instid1(VALU_DEP_2)
	v_and_b32_e32 v2, 0xff, v2
	v_cmpx_gt_u32_e32 0x80, v1
	s_cbranch_execz .LBB7_4
; %bb.3:
	s_delay_alu instid0(VALU_DEP_2)
	v_mad_u32 v3, v1, s8, v2
	v_mul_lo_u32 v4, 0xa0, v1
	v_lshlrev_b32_e32 v5, 2, v2
	global_load_b32 v3, v3, s[4:5] scale_offset
	v_add3_u32 v4, 0, v4, v5
	s_wait_loadcnt 0x0
	ds_store_b32 v4, v3
.LBB7_4:
	s_or_b32 exec_lo, exec_lo, s6
	s_delay_alu instid0(VALU_DEP_2) | instskip(SKIP_1) | instid1(VALU_DEP_1)
	v_or_b32_e32 v2, 0x80, v2
	s_mov_b32 s6, exec_lo
	v_mul_lo_u16 v3, 0xcd, v2
	s_delay_alu instid0(VALU_DEP_1) | instskip(NEXT) | instid1(VALU_DEP_1)
	v_lshrrev_b16 v3, 13, v3
	v_mul_lo_u16 v4, v3, 40
	v_and_b32_e32 v3, 0xffff, v3
	s_delay_alu instid0(VALU_DEP_2) | instskip(NEXT) | instid1(VALU_DEP_2)
	v_sub_nc_u16 v2, v2, v4
	v_add_nc_u32_e32 v1, v1, v3
	s_delay_alu instid0(VALU_DEP_2) | instskip(NEXT) | instid1(VALU_DEP_2)
	;; [unrolled: 26-line block ×6, first 2 shown]
	v_and_b32_e32 v2, 0xff, v2
	v_cmpx_gt_u32_e32 0x80, v1
	s_cbranch_execz .LBB7_14
; %bb.13:
	s_delay_alu instid0(VALU_DEP_2)
	v_mad_u32 v3, v1, s8, v2
	v_mul_lo_u32 v4, 0xa0, v1
	v_lshlrev_b32_e32 v5, 2, v2
	global_load_b32 v3, v3, s[4:5] scale_offset
	v_add3_u32 v4, 0, v4, v5
	s_wait_loadcnt 0x0
	ds_store_b32 v4, v3
.LBB7_14:
	s_or_b32 exec_lo, exec_lo, s6
	s_delay_alu instid0(SALU_CYCLE_1)
	s_mov_b32 s6, exec_lo
	v_cmpx_gt_u32_e32 0x380, v0
	s_cbranch_execz .LBB7_35
; %bb.15:
	v_or_b32_e32 v2, 0x80, v2
	s_mov_b32 s9, exec_lo
	s_delay_alu instid0(VALU_DEP_1) | instskip(NEXT) | instid1(VALU_DEP_1)
	v_mul_lo_u16 v3, 0xcd, v2
	v_lshrrev_b16 v3, 13, v3
	s_delay_alu instid0(VALU_DEP_1) | instskip(SKIP_1) | instid1(VALU_DEP_2)
	v_mul_lo_u16 v4, v3, 40
	v_and_b32_e32 v3, 0xffff, v3
	v_sub_nc_u16 v2, v2, v4
	s_delay_alu instid0(VALU_DEP_2) | instskip(NEXT) | instid1(VALU_DEP_2)
	v_add_nc_u32_e32 v1, v1, v3
	v_and_b32_e32 v2, 0xff, v2
	s_delay_alu instid0(VALU_DEP_2)
	v_cmpx_gt_u32_e32 0x80, v1
	s_cbranch_execz .LBB7_17
; %bb.16:
	s_delay_alu instid0(VALU_DEP_2)
	v_mad_u32 v3, v1, s8, v2
	v_mul_lo_u32 v4, 0xa0, v1
	v_lshlrev_b32_e32 v5, 2, v2
	global_load_b32 v3, v3, s[4:5] scale_offset
	v_add3_u32 v4, 0, v4, v5
	s_wait_loadcnt 0x0
	ds_store_b32 v4, v3
.LBB7_17:
	s_or_b32 exec_lo, exec_lo, s9
	v_cmp_gt_u32_e32 vcc_lo, 0x300, v0
	s_and_b32 exec_lo, exec_lo, vcc_lo
	s_cbranch_execz .LBB7_35
; %bb.18:
	v_or_b32_e32 v2, 0x80, v2
	s_mov_b32 s9, exec_lo
	s_delay_alu instid0(VALU_DEP_1) | instskip(NEXT) | instid1(VALU_DEP_1)
	v_mul_lo_u16 v3, 0xcd, v2
	v_lshrrev_b16 v3, 13, v3
	s_delay_alu instid0(VALU_DEP_1) | instskip(SKIP_1) | instid1(VALU_DEP_2)
	v_mul_lo_u16 v4, v3, 40
	v_and_b32_e32 v3, 0xffff, v3
	v_sub_nc_u16 v2, v2, v4
	s_delay_alu instid0(VALU_DEP_2) | instskip(NEXT) | instid1(VALU_DEP_2)
	v_add_nc_u32_e32 v1, v1, v3
	v_and_b32_e32 v2, 0xff, v2
	s_delay_alu instid0(VALU_DEP_2)
	v_cmpx_gt_u32_e32 0x80, v1
	s_cbranch_execz .LBB7_20
; %bb.19:
	s_delay_alu instid0(VALU_DEP_2)
	v_mad_u32 v3, v1, s8, v2
	v_mul_lo_u32 v4, 0xa0, v1
	v_lshlrev_b32_e32 v5, 2, v2
	global_load_b32 v3, v3, s[4:5] scale_offset
	v_add3_u32 v4, 0, v4, v5
	s_wait_loadcnt 0x0
	ds_store_b32 v4, v3
.LBB7_20:
	s_or_b32 exec_lo, exec_lo, s9
	v_cmp_gt_u32_e32 vcc_lo, 0x280, v0
	s_and_b32 exec_lo, exec_lo, vcc_lo
	;; [unrolled: 30-line block ×6, first 2 shown]
	s_cbranch_execz .LBB7_35
; %bb.33:
	v_or_b32_e32 v2, 0x80, v2
	s_delay_alu instid0(VALU_DEP_1) | instskip(NEXT) | instid1(VALU_DEP_1)
	v_mul_lo_u16 v3, 0xcd, v2
	v_lshrrev_b16 v3, 13, v3
	s_delay_alu instid0(VALU_DEP_1) | instskip(NEXT) | instid1(VALU_DEP_1)
	v_and_b32_e32 v4, 0xffff, v3
	v_add_nc_u32_e32 v1, v1, v4
	s_delay_alu instid0(VALU_DEP_1)
	v_cmp_gt_u32_e32 vcc_lo, 0x80, v1
	s_and_b32 exec_lo, exec_lo, vcc_lo
	s_cbranch_execz .LBB7_35
; %bb.34:
	v_mul_lo_u16 v3, v3, 40
	s_delay_alu instid0(VALU_DEP_1) | instskip(NEXT) | instid1(VALU_DEP_1)
	v_sub_nc_u16 v2, v2, v3
	v_and_b32_e32 v2, 0xff, v2
	s_delay_alu instid0(VALU_DEP_1)
	v_mad_u32 v3, v1, s8, v2
	v_mul_lo_u32 v1, 0xa0, v1
	v_lshlrev_b32_e32 v2, 2, v2
	global_load_b32 v3, v3, s[4:5] scale_offset
	v_add3_u32 v1, 0, v1, v2
	s_wait_loadcnt 0x0
	ds_store_b32 v1, v3
.LBB7_35:
	s_or_b32 exec_lo, exec_lo, s6
	s_clause 0x1
	s_load_b128 s[8:11], s[0:1], 0x8
	s_load_b64 s[14:15], s[0:1], 0x28
	s_ashr_i32 s4, s7, 2
	s_ashr_i32 s5, s7, 31
	v_mul_lo_u32 v10, s4, v0
	s_mov_b32 s4, s7
	s_wait_dscnt 0x0
	s_mul_u64 s[4:5], s[2:3], s[4:5]
	s_barrier_signal -1
	s_barrier_wait -1
	s_delay_alu instid0(VALU_DEP_1) | instskip(SKIP_3) | instid1(VALU_DEP_1)
	v_ashrrev_i32_e32 v11, 31, v10
	s_wait_kmcnt 0x0
	s_add_nc_u64 s[4:5], s[8:9], s[4:5]
	s_cmp_eq_u64 s[10:11], 0
	v_lshl_add_u64 v[12:13], v[10:11], 2, s[4:5]
	s_clause 0x2
	global_load_b128 v[6:9], v[12:13], off offset:16
	global_load_b32 v11, v10, s[4:5] offset:32 scale_offset
	global_load_b128 v[2:5], v[12:13], off
	s_cbranch_scc1 .LBB7_37
; %bb.36:
	s_wait_xcnt 0x1
	s_lshl_b64 s[4:5], s[2:3], 2
	s_delay_alu instid0(SALU_CYCLE_1)
	s_add_nc_u64 s[4:5], s[10:11], s[4:5]
	global_load_b32 v12, v0, s[4:5] scale_offset
	s_branch .LBB7_38
.LBB7_37:
	s_wait_xcnt 0x0
	v_mov_b32_e32 v12, 0
.LBB7_38:
	s_wait_xcnt 0x0
	s_load_b64 s[4:5], s[0:1], 0x40
	s_wait_kmcnt 0x0
	s_sub_nc_u64 s[6:7], s[4:5], s[12:13]
	s_delay_alu instid0(SALU_CYCLE_1)
	v_cmp_lt_i64_e64 s4, s[6:7], 1
	s_and_b32 vcc_lo, exec_lo, s4
	s_cbranch_vccnz .LBB7_46
; %bb.39:
	v_min_u64 v[20:21], s[6:7], 32
	s_load_b96 s[8:10], s[0:1], 0x30
	s_wait_loadcnt 0x0
	v_dual_mov_b32 v14, v3 :: v_dual_mov_b32 v15, v4
	v_dual_mov_b32 v16, v5 :: v_dual_mov_b32 v17, v6
	;; [unrolled: 1-line block ×4, first 2 shown]
	v_mul_u32_u24_e32 v36, 0xa0, v0
	v_lshlrev_b32_e32 v0, 2, v0
	s_wait_kmcnt 0x0
	s_mul_i32 s0, s10, s16
	s_ashr_i32 s11, s9, 31
	s_ashr_i32 s17, s8, 31
	;; [unrolled: 1-line block ×4, first 2 shown]
	s_cmp_eq_u64 s[6:7], 1
	s_mov_b32 s16, s8
	s_cselect_b32 s5, -1, 0
	s_cmp_lg_u32 s4, 1
	s_mov_b32 s10, s9
	s_cselect_b32 s8, -1, 0
	s_mul_u64 s[6:7], s[12:13], s[10:11]
	s_or_b32 s5, s5, s8
	s_mul_u64 s[8:9], s[2:3], s[16:17]
	v_readfirstlane_b32 s2, v20
	v_readfirstlane_b32 s3, v21
	s_and_b32 vcc_lo, exec_lo, s5
	s_add_nc_u64 s[10:11], s[14:15], s[0:1]
	s_cbranch_vccnz .LBB7_43
; %bb.40:
	v_dual_mov_b32 v22, v2 :: v_dual_add_nc_u32 v37, 0, v36
	s_add_nc_u64 s[0:1], s[10:11], s[6:7]
	v_dual_mov_b32 v23, v2 :: v_dual_mov_b32 v24, v14
	ds_load_2addr_b32 v[26:27], v37 offset1:1
	s_add_nc_u64 s[0:1], s[0:1], s[8:9]
	v_dual_mov_b32 v25, v3 :: v_dual_mov_b32 v28, v4
	v_add_nc_u64_e32 v[20:21], s[0:1], v[0:1]
	v_dual_mov_b32 v29, v15 :: v_dual_mov_b32 v4, v16
	v_dual_mov_b32 v30, v6 :: v_dual_mov_b32 v31, v17
	;; [unrolled: 1-line block ×5, first 2 shown]
	v_mov_b32_e32 v13, v12
	s_and_b64 s[12:13], s[2:3], 62
	s_delay_alu instid0(SALU_CYCLE_1)
	s_mov_b64 s[14:15], s[12:13]
.LBB7_41:                               ; =>This Inner Loop Header: Depth=1
	ds_load_2addr_b32 v[38:39], v37 offset0:1 offset1:2
	s_wait_dscnt 0x1
	v_pk_fma_f32 v[40:41], v[22:23], v[26:27], 0 op_sel_hi:[1,1,0]
	ds_load_2addr_b32 v[26:27], v37 offset0:2 offset1:3
	ds_load_2addr_b32 v[42:43], v37 offset0:3 offset1:4
	;; [unrolled: 1-line block ×7, first 2 shown]
	s_add_nc_u64 s[14:15], s[14:15], -2
	v_add_nc_u32_e32 v37, 8, v37
	s_cmp_lg_u64 s[14:15], 0
	s_wait_dscnt 0x7
	v_pk_fma_f32 v[38:39], v[24:25], v[38:39], v[40:41]
	s_wait_dscnt 0x6
	s_delay_alu instid0(VALU_DEP_1) | instskip(SKIP_1) | instid1(VALU_DEP_1)
	v_pk_fma_f32 v[38:39], v[28:29], v[26:27], v[38:39]
	s_wait_dscnt 0x5
	v_pk_fma_f32 v[38:39], v[4:5], v[42:43], v[38:39]
	s_wait_dscnt 0x4
	s_delay_alu instid0(VALU_DEP_1) | instskip(SKIP_1) | instid1(VALU_DEP_1)
	v_pk_fma_f32 v[38:39], v[30:31], v[44:45], v[38:39]
	;; [unrolled: 5-line block ×3, first 2 shown]
	s_wait_dscnt 0x1
	v_pk_fma_f32 v[38:39], v[8:9], v[50:51], v[38:39]
	s_wait_dscnt 0x0
	s_delay_alu instid0(VALU_DEP_1) | instskip(NEXT) | instid1(VALU_DEP_1)
	v_pk_fma_f32 v[38:39], v[34:35], v[52:53], v[38:39]
	v_pk_add_f32 v[38:39], v[12:13], v[38:39]
	s_delay_alu instid0(VALU_DEP_1) | instskip(NEXT) | instid1(VALU_DEP_2)
	v_mul_f32_e32 v1, 0xbfb8aa3b, v39
	v_mul_f32_e32 v3, 0xbfb8aa3b, v38
	v_cmp_nlt_f32_e32 vcc_lo, 0x42ce8ed0, v38
	v_cmp_nlt_f32_e64 s0, 0x42ce8ed0, v39
	s_delay_alu instid0(VALU_DEP_4) | instskip(SKIP_3) | instid1(VALU_DEP_3)
	v_fma_f32 v40, 0xbfb8aa3b, v39, -v1
	v_rndne_f32_e32 v41, v1
	v_fma_f32 v42, 0xbfb8aa3b, v38, -v3
	v_rndne_f32_e32 v43, v3
	v_dual_fmac_f32 v40, 0xb2a5705f, v39 :: v_dual_sub_f32 v1, v1, v41
	s_delay_alu instid0(VALU_DEP_2) | instskip(NEXT) | instid1(VALU_DEP_2)
	v_dual_fmac_f32 v42, 0xb2a5705f, v38 :: v_dual_sub_f32 v3, v3, v43
	v_add_f32_e32 v1, v1, v40
	v_cvt_i32_f32_e32 v40, v41
	s_delay_alu instid0(VALU_DEP_3) | instskip(SKIP_1) | instid1(VALU_DEP_4)
	v_add_f32_e32 v3, v3, v42
	v_cvt_i32_f32_e32 v41, v43
	v_exp_f32_e32 v1, v1
	s_delay_alu instid0(VALU_DEP_2) | instskip(NEXT) | instid1(TRANS32_DEP_2)
	v_exp_f32_e32 v3, v3
	v_ldexp_f32 v1, v1, v40
	s_delay_alu instid0(TRANS32_DEP_1) | instskip(NEXT) | instid1(VALU_DEP_2)
	v_ldexp_f32 v3, v3, v41
	v_cndmask_b32_e64 v1, 0, v1, s0
	v_cmp_ngt_f32_e64 s0, 0xc2b17218, v39
	s_delay_alu instid0(VALU_DEP_3) | instskip(SKIP_1) | instid1(VALU_DEP_3)
	v_cndmask_b32_e32 v3, 0, v3, vcc_lo
	v_cmp_ngt_f32_e32 vcc_lo, 0xc2b17218, v38
	v_cndmask_b32_e64 v41, 0x7f800000, v1, s0
	s_delay_alu instid0(VALU_DEP_3) | instskip(NEXT) | instid1(VALU_DEP_1)
	v_cndmask_b32_e32 v40, 0x7f800000, v3, vcc_lo
	v_pk_add_f32 v[40:41], v[40:41], 1.0 op_sel_hi:[1,0]
	s_delay_alu instid0(VALU_DEP_1) | instskip(NEXT) | instid1(VALU_DEP_2)
	v_div_scale_f32 v1, null, v41, v41, v39
	v_div_scale_f32 v3, null, v40, v40, v38
	v_div_scale_f32 v42, vcc_lo, v39, v41, v39
	s_delay_alu instid0(VALU_DEP_3) | instskip(NEXT) | instid1(VALU_DEP_2)
	v_rcp_f32_e32 v43, v1
	v_rcp_f32_e32 v44, v3
	v_div_scale_f32 v45, s0, v38, v40, v38
	s_delay_alu instid0(TRANS32_DEP_2) | instskip(NEXT) | instid1(TRANS32_DEP_1)
	v_fma_f32 v46, -v1, v43, 1.0
	v_fma_f32 v47, -v3, v44, 1.0
	s_delay_alu instid0(VALU_DEP_1) | instskip(NEXT) | instid1(VALU_DEP_1)
	v_dual_fmac_f32 v43, v46, v43 :: v_dual_fmac_f32 v44, v47, v44
	v_dual_mul_f32 v46, v42, v43 :: v_dual_mul_f32 v47, v45, v44
	s_delay_alu instid0(VALU_DEP_1) | instskip(NEXT) | instid1(VALU_DEP_1)
	v_fma_f32 v48, -v1, v46, v42
	v_fmac_f32_e32 v46, v48, v43
	s_delay_alu instid0(VALU_DEP_1) | instskip(NEXT) | instid1(VALU_DEP_1)
	v_dual_fma_f32 v49, -v3, v47, v45 :: v_dual_fma_f32 v1, -v1, v46, v42
	v_fmac_f32_e32 v47, v49, v44
	s_delay_alu instid0(VALU_DEP_2) | instskip(NEXT) | instid1(VALU_DEP_2)
	v_div_fmas_f32 v1, v1, v43, v46
	v_fma_f32 v3, -v3, v47, v45
	s_mov_b32 vcc_lo, s0
	s_delay_alu instid0(VALU_DEP_2) | instskip(NEXT) | instid1(VALU_DEP_2)
	v_div_fixup_f32 v39, v1, v41, v39
	v_div_fmas_f32 v3, v3, v44, v47
	s_delay_alu instid0(VALU_DEP_1)
	v_div_fixup_f32 v38, v3, v40, v38
	global_store_b64 v[20:21], v[38:39], off
	s_wait_xcnt 0x0
	v_add_nc_u64_e32 v[20:21], 8, v[20:21]
	s_cbranch_scc1 .LBB7_41
; %bb.42:
	s_cmp_lg_u64 s[2:3], s[12:13]
	s_cselect_b32 s0, -1, 0
	s_delay_alu instid0(SALU_CYCLE_1)
	s_and_b32 vcc_lo, exec_lo, s0
	s_cbranch_vccnz .LBB7_44
	s_branch .LBB7_46
.LBB7_43:
	s_mov_b64 s[12:13], 0
	s_cbranch_execz .LBB7_46
.LBB7_44:
	s_lshl_b32 s0, s12, 2
	s_ashr_i32 s5, s4, 31
	v_add3_u32 v3, 0, s0, v36
	s_mul_u64 s[0:1], s[12:13], s[4:5]
	s_add_nc_u64 s[6:7], s[8:9], s[6:7]
	s_lshl_b64 s[0:1], s[0:1], 2
	v_mov_b32_e32 v1, 0
	ds_load_b32 v4, v3
	s_add_nc_u64 s[0:1], s[6:7], s[0:1]
	s_delay_alu instid0(SALU_CYCLE_1) | instskip(NEXT) | instid1(SALU_CYCLE_1)
	s_add_nc_u64 s[0:1], s[10:11], s[0:1]
	v_add_nc_u64_e32 v[0:1], s[0:1], v[0:1]
	s_sub_nc_u64 s[0:1], s[2:3], s[12:13]
	s_lshl_b64 s[2:3], s[4:5], 2
.LBB7_45:                               ; =>This Inner Loop Header: Depth=1
	s_wait_dscnt 0x0
	v_fma_f32 v13, v2, v4, 0
	ds_load_2addr_b32 v[4:5], v3 offset0:1 offset1:2
	ds_load_2addr_b32 v[6:7], v3 offset0:3 offset1:4
	;; [unrolled: 1-line block ×4, first 2 shown]
	v_add_nc_u32_e32 v3, 4, v3
	s_add_nc_u64 s[0:1], s[0:1], -1
	s_delay_alu instid0(SALU_CYCLE_1)
	s_cmp_lg_u64 s[0:1], 0
	s_wait_dscnt 0x3
	v_pk_mul_f32 v[22:23], v[14:15], v[4:5]
	s_wait_dscnt 0x2
	v_pk_mul_f32 v[6:7], v[16:17], v[6:7]
	;; [unrolled: 2-line block ×3, first 2 shown]
	v_add_f32_e32 v5, v13, v22
	s_delay_alu instid0(VALU_DEP_1) | instskip(NEXT) | instid1(VALU_DEP_1)
	v_add_f32_e32 v5, v5, v23
	v_add_f32_e32 v5, v5, v6
	s_delay_alu instid0(VALU_DEP_1) | instskip(SKIP_2) | instid1(VALU_DEP_2)
	v_add_f32_e32 v5, v5, v7
	s_wait_dscnt 0x0
	v_pk_mul_f32 v[6:7], v[10:11], v[20:21]
	v_add_f32_e32 v5, v5, v8
	s_delay_alu instid0(VALU_DEP_1) | instskip(NEXT) | instid1(VALU_DEP_1)
	v_add_f32_e32 v5, v5, v9
	v_add_f32_e32 v5, v5, v6
	s_delay_alu instid0(VALU_DEP_1) | instskip(NEXT) | instid1(VALU_DEP_1)
	v_add_f32_e32 v5, v5, v7
	v_add_f32_e32 v5, v12, v5
	s_delay_alu instid0(VALU_DEP_1) | instskip(SKIP_1) | instid1(VALU_DEP_2)
	v_mul_f32_e32 v6, 0xbfb8aa3b, v5
	v_cmp_nlt_f32_e32 vcc_lo, 0x42ce8ed0, v5
	v_fma_f32 v7, 0xbfb8aa3b, v5, -v6
	v_rndne_f32_e32 v8, v6
	s_delay_alu instid0(VALU_DEP_1) | instskip(NEXT) | instid1(VALU_DEP_1)
	v_dual_fmac_f32 v7, 0xb2a5705f, v5 :: v_dual_sub_f32 v6, v6, v8
	v_add_f32_e32 v6, v6, v7
	v_cvt_i32_f32_e32 v7, v8
	s_delay_alu instid0(VALU_DEP_2) | instskip(SKIP_1) | instid1(TRANS32_DEP_1)
	v_exp_f32_e32 v6, v6
	v_nop
	v_ldexp_f32 v6, v6, v7
	s_delay_alu instid0(VALU_DEP_1) | instskip(SKIP_1) | instid1(VALU_DEP_2)
	v_cndmask_b32_e32 v6, 0, v6, vcc_lo
	v_cmp_ngt_f32_e32 vcc_lo, 0xc2b17218, v5
	v_cndmask_b32_e32 v6, 0x7f800000, v6, vcc_lo
	s_delay_alu instid0(VALU_DEP_1) | instskip(NEXT) | instid1(VALU_DEP_1)
	v_add_f32_e32 v6, 1.0, v6
	v_div_scale_f32 v7, null, v6, v6, v5
	s_delay_alu instid0(VALU_DEP_1) | instskip(SKIP_1) | instid1(TRANS32_DEP_1)
	v_rcp_f32_e32 v8, v7
	v_nop
	v_fma_f32 v9, -v7, v8, 1.0
	s_delay_alu instid0(VALU_DEP_1) | instskip(SKIP_1) | instid1(VALU_DEP_1)
	v_fmac_f32_e32 v8, v9, v8
	v_div_scale_f32 v13, vcc_lo, v5, v6, v5
	v_mul_f32_e32 v9, v13, v8
	s_delay_alu instid0(VALU_DEP_1) | instskip(NEXT) | instid1(VALU_DEP_1)
	v_fma_f32 v20, -v7, v9, v13
	v_fmac_f32_e32 v9, v20, v8
	s_delay_alu instid0(VALU_DEP_1) | instskip(NEXT) | instid1(VALU_DEP_1)
	v_fma_f32 v7, -v7, v9, v13
	v_div_fmas_f32 v7, v7, v8, v9
	s_delay_alu instid0(VALU_DEP_1)
	v_div_fixup_f32 v5, v7, v6, v5
	global_store_b32 v[0:1], v5, off
	s_wait_xcnt 0x0
	v_add_nc_u64_e32 v[0:1], s[2:3], v[0:1]
	s_cbranch_scc1 .LBB7_45
.LBB7_46:
	s_endpgm
	.section	.rodata,"a",@progbits
	.p2align	6, 0x0
	.amdhsa_kernel _ZL23ssm_conv_long_token_f32ILb1ELm128ELm9ELl32EEvPKfS1_S1_iiiiPfiiil
		.amdhsa_group_segment_fixed_size 0
		.amdhsa_private_segment_fixed_size 0
		.amdhsa_kernarg_size 72
		.amdhsa_user_sgpr_count 2
		.amdhsa_user_sgpr_dispatch_ptr 0
		.amdhsa_user_sgpr_queue_ptr 0
		.amdhsa_user_sgpr_kernarg_segment_ptr 1
		.amdhsa_user_sgpr_dispatch_id 0
		.amdhsa_user_sgpr_kernarg_preload_length 0
		.amdhsa_user_sgpr_kernarg_preload_offset 0
		.amdhsa_user_sgpr_private_segment_size 0
		.amdhsa_wavefront_size32 1
		.amdhsa_uses_dynamic_stack 0
		.amdhsa_enable_private_segment 0
		.amdhsa_system_sgpr_workgroup_id_x 1
		.amdhsa_system_sgpr_workgroup_id_y 1
		.amdhsa_system_sgpr_workgroup_id_z 1
		.amdhsa_system_sgpr_workgroup_info 0
		.amdhsa_system_vgpr_workitem_id 0
		.amdhsa_next_free_vgpr 64
		.amdhsa_next_free_sgpr 20
		.amdhsa_named_barrier_count 0
		.amdhsa_reserve_vcc 1
		.amdhsa_float_round_mode_32 0
		.amdhsa_float_round_mode_16_64 0
		.amdhsa_float_denorm_mode_32 3
		.amdhsa_float_denorm_mode_16_64 3
		.amdhsa_fp16_overflow 0
		.amdhsa_memory_ordered 1
		.amdhsa_forward_progress 1
		.amdhsa_inst_pref_size 60
		.amdhsa_round_robin_scheduling 0
		.amdhsa_exception_fp_ieee_invalid_op 0
		.amdhsa_exception_fp_denorm_src 0
		.amdhsa_exception_fp_ieee_div_zero 0
		.amdhsa_exception_fp_ieee_overflow 0
		.amdhsa_exception_fp_ieee_underflow 0
		.amdhsa_exception_fp_ieee_inexact 0
		.amdhsa_exception_int_div_zero 0
	.end_amdhsa_kernel
	.section	.text._ZL23ssm_conv_long_token_f32ILb1ELm128ELm9ELl32EEvPKfS1_S1_iiiiPfiiil,"axG",@progbits,_ZL23ssm_conv_long_token_f32ILb1ELm128ELm9ELl32EEvPKfS1_S1_iiiiPfiiil,comdat
.Lfunc_end7:
	.size	_ZL23ssm_conv_long_token_f32ILb1ELm128ELm9ELl32EEvPKfS1_S1_iiiiPfiiil, .Lfunc_end7-_ZL23ssm_conv_long_token_f32ILb1ELm128ELm9ELl32EEvPKfS1_S1_iiiiPfiiil
                                        ; -- End function
	.set _ZL23ssm_conv_long_token_f32ILb1ELm128ELm9ELl32EEvPKfS1_S1_iiiiPfiiil.num_vgpr, 64
	.set _ZL23ssm_conv_long_token_f32ILb1ELm128ELm9ELl32EEvPKfS1_S1_iiiiPfiiil.num_agpr, 0
	.set _ZL23ssm_conv_long_token_f32ILb1ELm128ELm9ELl32EEvPKfS1_S1_iiiiPfiiil.numbered_sgpr, 20
	.set _ZL23ssm_conv_long_token_f32ILb1ELm128ELm9ELl32EEvPKfS1_S1_iiiiPfiiil.num_named_barrier, 0
	.set _ZL23ssm_conv_long_token_f32ILb1ELm128ELm9ELl32EEvPKfS1_S1_iiiiPfiiil.private_seg_size, 0
	.set _ZL23ssm_conv_long_token_f32ILb1ELm128ELm9ELl32EEvPKfS1_S1_iiiiPfiiil.uses_vcc, 1
	.set _ZL23ssm_conv_long_token_f32ILb1ELm128ELm9ELl32EEvPKfS1_S1_iiiiPfiiil.uses_flat_scratch, 0
	.set _ZL23ssm_conv_long_token_f32ILb1ELm128ELm9ELl32EEvPKfS1_S1_iiiiPfiiil.has_dyn_sized_stack, 0
	.set _ZL23ssm_conv_long_token_f32ILb1ELm128ELm9ELl32EEvPKfS1_S1_iiiiPfiiil.has_recursion, 0
	.set _ZL23ssm_conv_long_token_f32ILb1ELm128ELm9ELl32EEvPKfS1_S1_iiiiPfiiil.has_indirect_call, 0
	.section	.AMDGPU.csdata,"",@progbits
; Kernel info:
; codeLenInByte = 7580
; TotalNumSgprs: 22
; NumVgprs: 64
; ScratchSize: 0
; MemoryBound: 0
; FloatMode: 240
; IeeeMode: 1
; LDSByteSize: 0 bytes/workgroup (compile time only)
; SGPRBlocks: 0
; VGPRBlocks: 3
; NumSGPRsForWavesPerEU: 22
; NumVGPRsForWavesPerEU: 64
; NamedBarCnt: 0
; Occupancy: 16
; WaveLimiterHint : 0
; COMPUTE_PGM_RSRC2:SCRATCH_EN: 0
; COMPUTE_PGM_RSRC2:USER_SGPR: 2
; COMPUTE_PGM_RSRC2:TRAP_HANDLER: 0
; COMPUTE_PGM_RSRC2:TGID_X_EN: 1
; COMPUTE_PGM_RSRC2:TGID_Y_EN: 1
; COMPUTE_PGM_RSRC2:TGID_Z_EN: 1
; COMPUTE_PGM_RSRC2:TIDIG_COMP_CNT: 0
	.section	.text._ZL12ssm_conv_f32ILb1ELm128ELm15EEvPKfS1_S1_iiiiPfiiil,"axG",@progbits,_ZL12ssm_conv_f32ILb1ELm128ELm15EEvPKfS1_S1_iiiiPfiiil,comdat
	.globl	_ZL12ssm_conv_f32ILb1ELm128ELm15EEvPKfS1_S1_iiiiPfiiil ; -- Begin function _ZL12ssm_conv_f32ILb1ELm128ELm15EEvPKfS1_S1_iiiiPfiiil
	.p2align	8
	.type	_ZL12ssm_conv_f32ILb1ELm128ELm15EEvPKfS1_S1_iiiiPfiiil,@function
_ZL12ssm_conv_f32ILb1ELm128ELm15EEvPKfS1_S1_iiiiPfiiil: ; @_ZL12ssm_conv_f32ILb1ELm128ELm15EEvPKfS1_S1_iiiiPfiiil
; %bb.0:
	s_load_b64 s[2:3], s[0:1], 0x10
	s_bfe_u32 s4, ttmp6, 0x40010
	s_bfe_u32 s5, ttmp6, 0x40004
	s_add_co_i32 s4, s4, 1
	s_getreg_b32 s11, hwreg(HW_REG_IB_STS2, 6, 4)
	s_mul_i32 s4, ttmp7, s4
	s_delay_alu instid0(SALU_CYCLE_1) | instskip(SKIP_2) | instid1(SALU_CYCLE_1)
	s_add_co_i32 s5, s5, s4
	s_cmp_eq_u32 s11, 0
	s_cselect_b32 s4, ttmp7, s5
	s_ashr_i32 s5, s4, 31
	s_delay_alu instid0(SALU_CYCLE_1)
	s_lshl_b64 s[12:13], s[4:5], 7
	s_wait_kmcnt 0x0
	s_cmp_eq_u64 s[2:3], 0
	s_cbranch_scc1 .LBB8_2
; %bb.1:
	s_lshl_b64 s[4:5], s[12:13], 2
	s_delay_alu instid0(SALU_CYCLE_1)
	s_add_nc_u64 s[2:3], s[2:3], s[4:5]
	global_load_b32 v36, v0, s[2:3] scale_offset
	s_wait_xcnt 0x0
	s_load_b64 s[2:3], s[0:1], 0x40
	s_wait_kmcnt 0x0
	v_cmp_lt_i64_e64 s4, s[2:3], 1
	s_and_b32 vcc_lo, exec_lo, s4
	s_cbranch_vccz .LBB8_3
	s_branch .LBB8_6
.LBB8_2:
	v_mov_b32_e32 v36, 0
	s_load_b64 s[2:3], s[0:1], 0x40
	s_wait_kmcnt 0x0
	v_cmp_lt_i64_e64 s4, s[2:3], 1
	s_and_b32 vcc_lo, exec_lo, s4
	s_cbranch_vccnz .LBB8_6
.LBB8_3:
	s_load_b96 s[8:10], s[0:1], 0x1c
	s_bfe_u32 s4, ttmp6, 0x4000c
	s_and_b32 s14, ttmp6, 15
	s_add_co_i32 s4, s4, 1
	s_delay_alu instid0(SALU_CYCLE_1)
	s_mul_i32 s15, ttmp9, s4
	s_load_b128 s[4:7], s[0:1], 0x0
	s_add_co_i32 s14, s14, s15
	s_wait_kmcnt 0x0
	s_ashr_i32 s15, s10, 31
	s_ashr_i32 s16, s10, 2
	s_cmp_eq_u32 s11, 0
	v_mul_lo_u32 v26, s16, v0
	s_cselect_b32 s17, ttmp9, s14
	s_ashr_i32 s11, s8, 2
	s_mov_b32 s14, s10
	v_mul_lo_u32 v28, s11, v0
	s_mul_u64 s[10:11], s[12:13], s[14:15]
	s_mul_i32 s14, s9, s17
	s_ashr_i32 s9, s8, 31
	s_ashr_i32 s15, s14, 31
	s_mul_u64 s[8:9], s[12:13], s[8:9]
	s_add_nc_u64 s[4:5], s[4:5], s[14:15]
	v_ashrrev_i32_e32 v27, 31, v26
	s_add_nc_u64 s[6:7], s[6:7], s[10:11]
	s_add_nc_u64 s[4:5], s[4:5], s[8:9]
	s_delay_alu instid0(VALU_DEP_2) | instskip(NEXT) | instid1(VALU_DEP_2)
	v_ashrrev_i32_e32 v29, 31, v28
	v_lshl_add_u64 v[38:39], v[26:27], 2, s[6:7]
	s_delay_alu instid0(VALU_DEP_2)
	v_lshl_add_u64 v[34:35], v[28:29], 2, s[4:5]
	global_load_b128 v[18:21], v[38:39], off
	global_load_b128 v[2:5], v[34:35], off
	global_load_b128 v[22:25], v[38:39], off offset:16
	global_load_b128 v[6:9], v[34:35], off offset:16
	;; [unrolled: 1-line block ×4, first 2 shown]
	global_load_b64 v[40:41], v[38:39], off offset:48
	s_clause 0x1
	global_load_b64 v[14:15], v[34:35], off offset:48
	global_load_b32 v16, v28, s[4:5] offset:56 scale_offset
	global_load_b32 v27, v26, s[6:7] offset:56 scale_offset
	s_wait_xcnt 0x0
	s_load_b96 s[4:6], s[0:1], 0x30
	s_wait_kmcnt 0x0
	s_mul_i32 s6, s6, s17
	s_load_b64 s[0:1], s[0:1], 0x28
	s_ashr_i32 s7, s6, 31
	s_ashr_i32 s11, s4, 31
	s_mov_b32 s10, s4
	s_cmp_eq_u64 s[2:3], 1
	s_wait_kmcnt 0x0
	s_add_nc_u64 s[8:9], s[0:1], s[6:7]
	s_mul_u64 s[6:7], s[12:13], s[10:11]
	s_mov_b32 s1, 0
	s_add_nc_u64 s[10:11], s[8:9], s[6:7]
	s_wait_loadcnt 0x8
	v_fma_f32 v1, v18, v2, 0
	s_wait_loadcnt 0x6
	v_dual_mov_b32 v29, v24 :: v_dual_mov_b32 v38, v7
	v_dual_mov_b32 v39, v8 :: v_dual_mov_b32 v24, v25
	s_wait_loadcnt 0x4
	v_dual_mov_b32 v43, v10 :: v_dual_fmac_f32 v1, v19, v3
	s_wait_loadcnt 0x3
	v_dual_mov_b32 v26, v41 :: v_dual_mov_b32 v28, v23
	v_dual_mov_b32 v25, v30 :: v_dual_mov_b32 v42, v9
	s_delay_alu instid0(VALU_DEP_3) | instskip(NEXT) | instid1(VALU_DEP_3)
	v_dual_fmac_f32 v1, v20, v4 :: v_dual_mov_b32 v30, v31
	v_pk_mul_f32 v[38:39], v[28:29], v[38:39]
	v_mov_b32_e32 v31, v32
	s_delay_alu instid0(VALU_DEP_4) | instskip(NEXT) | instid1(VALU_DEP_4)
	v_pk_mul_f32 v[42:43], v[24:25], v[42:43]
	v_fmac_f32_e32 v1, v21, v5
	v_dual_mov_b32 v32, v33 :: v_dual_mov_b32 v33, v40
	s_delay_alu instid0(VALU_DEP_2) | instskip(NEXT) | instid1(VALU_DEP_1)
	v_fmac_f32_e32 v1, v22, v6
	v_dual_add_f32 v1, v1, v38 :: v_dual_mov_b32 v38, v11
	s_delay_alu instid0(VALU_DEP_1) | instskip(NEXT) | instid1(VALU_DEP_1)
	v_dual_add_f32 v1, v1, v39 :: v_dual_mov_b32 v39, v12
	v_add_f32_e32 v1, v1, v42
	s_delay_alu instid0(VALU_DEP_2) | instskip(SKIP_2) | instid1(VALU_DEP_3)
	v_pk_mul_f32 v[38:39], v[30:31], v[38:39]
	v_mov_b32_e32 v42, v13
	s_wait_loadcnt 0x2
	v_dual_add_f32 v1, v1, v43 :: v_dual_mov_b32 v43, v14
	s_delay_alu instid0(VALU_DEP_1) | instskip(NEXT) | instid1(VALU_DEP_2)
	v_add_f32_e32 v1, v1, v38
	v_pk_mul_f32 v[42:43], v[32:33], v[42:43]
	s_delay_alu instid0(VALU_DEP_2) | instskip(SKIP_1) | instid1(VALU_DEP_1)
	v_dual_mov_b32 v38, v15 :: v_dual_add_f32 v1, v1, v39
	s_wait_loadcnt 0x1
	v_dual_mov_b32 v39, v16 :: v_dual_add_f32 v1, v1, v42
	s_wait_loadcnt 0x0
	s_delay_alu instid0(VALU_DEP_1) | instskip(NEXT) | instid1(VALU_DEP_2)
	v_pk_mul_f32 v[38:39], v[26:27], v[38:39]
	v_add_f32_e32 v1, v1, v43
	s_delay_alu instid0(VALU_DEP_1) | instskip(NEXT) | instid1(VALU_DEP_1)
	v_add_f32_e32 v1, v1, v38
	v_add_f32_e32 v1, v1, v39
	s_delay_alu instid0(VALU_DEP_1) | instskip(NEXT) | instid1(VALU_DEP_1)
	v_add_f32_e32 v1, v36, v1
	v_mul_f32_e32 v17, 0xbfb8aa3b, v1
	v_cmp_nlt_f32_e32 vcc_lo, 0x42ce8ed0, v1
	s_delay_alu instid0(VALU_DEP_2) | instskip(SKIP_1) | instid1(VALU_DEP_2)
	v_fma_f32 v23, 0xbfb8aa3b, v1, -v17
	v_rndne_f32_e32 v37, v17
	v_fmac_f32_e32 v23, 0xb2a5705f, v1
	s_delay_alu instid0(VALU_DEP_2) | instskip(NEXT) | instid1(VALU_DEP_1)
	v_sub_f32_e32 v17, v17, v37
	v_add_f32_e32 v17, v17, v23
	v_cvt_i32_f32_e32 v23, v37
	s_delay_alu instid0(VALU_DEP_2) | instskip(SKIP_1) | instid1(TRANS32_DEP_1)
	v_exp_f32_e32 v17, v17
	v_nop
	v_ldexp_f32 v17, v17, v23
	s_delay_alu instid0(VALU_DEP_1) | instskip(SKIP_1) | instid1(VALU_DEP_2)
	v_cndmask_b32_e32 v17, 0, v17, vcc_lo
	v_cmp_ngt_f32_e32 vcc_lo, 0xc2b17218, v1
	v_cndmask_b32_e32 v17, 0x7f800000, v17, vcc_lo
	s_delay_alu instid0(VALU_DEP_1) | instskip(NEXT) | instid1(VALU_DEP_1)
	v_add_f32_e32 v17, 1.0, v17
	v_div_scale_f32 v23, null, v17, v17, v1
	s_delay_alu instid0(VALU_DEP_1) | instskip(SKIP_1) | instid1(TRANS32_DEP_1)
	v_rcp_f32_e32 v37, v23
	v_nop
	v_fma_f32 v38, -v23, v37, 1.0
	s_delay_alu instid0(VALU_DEP_1) | instskip(SKIP_1) | instid1(VALU_DEP_1)
	v_fmac_f32_e32 v37, v38, v37
	v_div_scale_f32 v38, vcc_lo, v1, v17, v1
	v_mul_f32_e32 v39, v38, v37
	s_delay_alu instid0(VALU_DEP_1) | instskip(NEXT) | instid1(VALU_DEP_1)
	v_fma_f32 v40, -v23, v39, v38
	v_fmac_f32_e32 v39, v40, v37
	s_delay_alu instid0(VALU_DEP_1) | instskip(NEXT) | instid1(VALU_DEP_1)
	v_fma_f32 v23, -v23, v39, v38
	v_div_fmas_f32 v23, v23, v37, v39
	s_delay_alu instid0(VALU_DEP_1)
	v_div_fixup_f32 v17, v23, v17, v1
	v_mov_b32_e32 v1, 0
	global_store_b32 v0, v17, s[10:11] scale_offset
	s_cbranch_scc1 .LBB8_6
; %bb.4:
	s_ashr_i32 s4, s5, 2
	s_wait_xcnt 0x0
	v_lshlrev_b32_e32 v0, 2, v0
	s_ashr_i32 s5, s4, 31
	v_add_nc_u64_e32 v[34:35], 60, v[34:35]
	s_lshl_b64 s[4:5], s[4:5], 2
	s_add_nc_u64 s[2:3], s[2:3], -1
	s_add_nc_u64 s[10:11], s[6:7], s[4:5]
	s_mov_b64 s[6:7], 1
	s_add_nc_u64 s[10:11], s[8:9], s[10:11]
	s_mov_b64 s[8:9], 0
	v_add_nc_u64_e32 v[0:1], s[10:11], v[0:1]
	s_mov_b64 s[10:11], 15
	s_mov_b64 s[12:13], 14
	;; [unrolled: 1-line block ×16, first 2 shown]
.LBB8_5:                                ; =>This Inner Loop Header: Depth=1
	global_load_b32 v23, v[34:35], off
	s_mov_b64 s[30:31], 0xffffffff
	s_mov_b32 s64, s10
	s_and_b64 s[50:51], s[6:7], s[30:31]
	s_mov_b32 s65, s1
	s_mov_b32 s74, s12
	;; [unrolled: 1-line block ×3, first 2 shown]
	s_mul_u64 s[98:99], s[50:51], s[28:29]
	s_mov_b32 s80, s14
	s_mov_b32 s81, s1
	;; [unrolled: 1-line block ×4, first 2 shown]
	s_mul_u64 s[100:101], s[64:65], s[28:29]
	s_mov_b32 s58, s99
	s_mul_u64 s[98:99], s[74:75], s[28:29]
	s_mov_b32 s0, s7
	s_mov_b32 s86, s18
	;; [unrolled: 1-line block ×4, first 2 shown]
	s_mul_u64 s[100:101], s[80:81], s[28:29]
	s_mov_b32 s84, s99
	s_mul_u64 s[98:99], s[82:83], s[28:29]
	s_mul_u64 s[96:97], s[0:1], s[28:29]
	s_mov_b32 s90, s101
	s_mul_u64 s[100:101], s[0:1], s[34:35]
	s_mov_b32 s92, s99
	;; [unrolled: 2-line block ×3, first 2 shown]
	s_mov_b32 s59, s1
	s_mov_b32 s73, s1
	;; [unrolled: 1-line block ×3, first 2 shown]
	s_mul_u64 s[98:99], s[0:1], s[28:29]
	s_add_nc_u64 s[58:59], s[96:97], s[58:59]
	s_mul_u64 s[96:97], s[0:1], s[34:35]
	s_mov_b32 s0, s13
	s_add_nc_u64 s[72:73], s[98:99], s[72:73]
	s_mov_b32 s85, s1
	s_mul_u64 s[98:99], s[0:1], s[28:29]
	s_mul_u64 s[50:51], s[50:51], s[34:35]
	s_mul_u64 s[64:65], s[64:65], s[34:35]
	s_mov_b32 s46, s59
	s_mov_b32 s59, s1
	s_mul_u64 s[102:103], s[0:1], s[34:35]
	s_mov_b32 s0, s15
	s_mov_b32 s52, s73
	;; [unrolled: 1-line block ×4, first 2 shown]
	s_add_nc_u64 s[84:85], s[98:99], s[84:85]
	s_add_nc_u64 s[58:59], s[50:51], s[58:59]
	;; [unrolled: 1-line block ×3, first 2 shown]
	s_mul_u64 s[50:51], s[0:1], s[28:29]
	s_mul_u64 s[74:75], s[74:75], s[34:35]
	s_add_nc_u64 s[72:73], s[50:51], s[90:91]
	s_mov_b32 s54, s65
	s_mul_u64 s[64:65], s[0:1], s[34:35]
	s_mov_b32 s0, s17
	s_mov_b32 s56, s85
	;; [unrolled: 1-line block ×4, first 2 shown]
	s_add_nc_u64 s[74:75], s[74:75], s[84:85]
	s_mul_u64 s[84:85], s[0:1], s[28:29]
	s_mul_u64 s[80:81], s[80:81], s[34:35]
	s_mov_b32 s62, s73
	s_mov_b32 s73, s1
	;; [unrolled: 1-line block ×6, first 2 shown]
	s_add_nc_u64 s[84:85], s[84:85], s[92:93]
	s_mov_b32 s60, s75
	s_mul_u64 s[74:75], s[0:1], s[34:35]
	s_mov_b32 s0, s19
	s_add_nc_u64 s[72:73], s[80:81], s[72:73]
	s_mov_b32 s95, s1
	s_mul_u64 s[98:99], s[88:89], s[28:29]
	s_add_nc_u64 s[54:55], s[52:53], s[54:55]
	s_mul_u64 s[80:81], s[0:1], s[28:29]
	s_mul_u64 s[82:83], s[82:83], s[34:35]
	s_mov_b32 s68, s73
	s_mul_u64 s[72:73], s[0:1], s[34:35]
	s_mov_b32 s0, s21
	s_mov_b32 s66, s85
	;; [unrolled: 1-line block ×9, first 2 shown]
	s_add_nc_u64 s[80:81], s[80:81], s[94:95]
	s_add_nc_u64 s[54:55], s[96:97], s[54:55]
	;; [unrolled: 1-line block ×3, first 2 shown]
	s_mul_u64 s[84:85], s[0:1], s[28:29]
	s_mov_b32 s67, s1
	s_mov_b32 s71, s1
	s_add_nc_u64 s[46:47], s[46:47], s[48:49]
	s_mul_u64 s[48:49], s[90:91], s[28:29]
	s_add_nc_u64 s[84:85], s[84:85], s[98:99]
	s_mul_u64 s[86:87], s[86:87], s[34:35]
	s_mov_b32 s70, s83
	s_mul_u64 s[82:83], s[0:1], s[34:35]
	s_mov_b32 s0, s23
	s_mov_b32 s76, s81
	;; [unrolled: 1-line block ×3, first 2 shown]
	s_lshr_b64 s[54:55], s[54:55], 3
	s_mov_b32 s48, s49
	s_mov_b32 s49, s1
	s_add_nc_u64 s[80:81], s[86:87], s[80:81]
	s_mul_u64 s[86:87], s[0:1], s[28:29]
	s_mul_i32 s33, s54, 15
	s_add_nc_u64 s[54:55], s[66:67], s[70:71]
	s_mul_u64 s[66:67], s[88:89], s[34:35]
	s_mov_b32 s50, s85
	s_mov_b32 s85, s1
	;; [unrolled: 1-line block ×6, first 2 shown]
	s_add_nc_u64 s[46:47], s[100:101], s[46:47]
	s_mov_b32 s100, s26
	s_mov_b32 s101, s1
	s_add_nc_u64 s[48:49], s[86:87], s[48:49]
	s_mov_b32 s78, s81
	s_mul_u64 s[70:71], s[0:1], s[34:35]
	s_mov_b32 s0, s25
	s_add_nc_u64 s[66:67], s[66:67], s[84:85]
	s_mov_b32 s57, s1
	s_mov_b32 s61, s1
	;; [unrolled: 1-line block ×3, first 2 shown]
	s_add_nc_u64 s[62:63], s[62:63], s[68:69]
	s_mul_u64 s[68:69], s[100:101], s[28:29]
	s_lshr_b64 s[46:47], s[46:47], 3
	s_mul_u64 s[80:81], s[0:1], s[28:29]
	s_add_nc_u64 s[54:55], s[74:75], s[54:55]
	s_add_nc_u64 s[74:75], s[76:77], s[78:79]
	s_mul_u64 s[78:79], s[90:91], s[34:35]
	s_mov_b32 s58, s67
	s_mul_u64 s[66:67], s[0:1], s[34:35]
	s_mov_b32 s0, s27
	s_mov_b32 s52, s49
	;; [unrolled: 1-line block ×3, first 2 shown]
	s_mul_u64 s[96:97], s[94:95], s[28:29]
	s_add_nc_u64 s[60:61], s[56:57], s[60:61]
	s_mov_b32 s68, s69
	s_mov_b32 s69, s1
	s_mul_i32 s104, s46, 15
	s_add_nc_u64 s[46:47], s[64:65], s[62:63]
	s_mov_b32 s62, s36
	s_mov_b32 s63, s1
	;; [unrolled: 1-line block ×3, first 2 shown]
	s_add_nc_u64 s[78:79], s[78:79], s[48:49]
	s_mul_u64 s[48:49], s[0:1], s[28:29]
	s_mov_b32 s96, s97
	s_mov_b32 s97, s1
	s_add_nc_u64 s[60:61], s[102:103], s[60:61]
	s_mul_u64 s[64:65], s[62:63], s[28:29]
	s_add_nc_u64 s[68:69], s[48:49], s[68:69]
	s_mul_u64 s[48:49], s[76:77], s[28:29]
	s_mov_b32 s92, s79
	s_mul_u64 s[78:79], s[0:1], s[34:35]
	s_mov_b32 s0, s37
	s_mov_b32 s51, s1
	;; [unrolled: 1-line block ×5, first 2 shown]
	s_add_nc_u64 s[80:81], s[80:81], s[96:97]
	s_mov_b32 s90, s49
	s_lshr_b64 s[48:49], s[60:61], 3
	s_mov_b32 s96, s40
	s_mul_u64 s[60:61], s[0:1], s[28:29]
	s_add_nc_u64 s[50:51], s[50:51], s[58:59]
	s_mul_u64 s[58:59], s[94:95], s[34:35]
	s_mov_b32 s56, s81
	s_mov_b32 s81, s1
	s_add_nc_u64 s[64:65], s[60:61], s[64:65]
	s_mul_u64 s[60:61], s[96:97], s[28:29]
	s_add_nc_u64 s[72:73], s[72:73], s[74:75]
	s_add_nc_u64 s[58:59], s[58:59], s[80:81]
	s_mov_b32 s74, s61
	s_add_nc_u64 s[80:81], s[82:83], s[50:51]
	s_add_nc_u64 s[82:83], s[52:53], s[92:93]
	s_mul_u64 s[92:93], s[100:101], s[34:35]
	s_mul_u64 s[60:61], s[0:1], s[34:35]
	s_mov_b32 s0, s39
	s_mov_b32 s86, s69
	;; [unrolled: 1-line block ×4, first 2 shown]
	s_add_nc_u64 s[58:59], s[92:93], s[68:69]
	s_mul_u64 s[68:69], s[0:1], s[28:29]
	s_mov_b32 s75, s1
	s_add_nc_u64 s[68:69], s[68:69], s[90:91]
	s_mul_u64 s[90:91], s[62:63], s[34:35]
	s_mul_u64 s[62:63], s[0:1], s[34:35]
	s_mov_b32 s0, s41
	s_mov_b32 s94, s42
	s_lshr_b64 s[54:55], s[54:55], 3
	s_add_nc_u64 s[70:71], s[70:71], s[82:83]
	s_add_nc_u64 s[82:83], s[56:57], s[98:99]
	s_mov_b32 s102, s59
	s_mov_b32 s84, s65
	;; [unrolled: 1-line block ×3, first 2 shown]
	s_mul_u64 s[58:59], s[0:1], s[28:29]
	s_lshr_b64 s[46:47], s[46:47], 3
	s_lshr_b64 s[72:73], s[72:73], 3
	s_mul_i32 s52, s54, 15
	s_mul_u64 s[54:55], s[94:95], s[28:29]
	s_add_nc_u64 s[64:65], s[90:91], s[64:65]
	s_add_nc_u64 s[90:91], s[58:59], s[74:75]
	;; [unrolled: 1-line block ×3, first 2 shown]
	s_mul_u64 s[66:67], s[0:1], s[34:35]
	s_mov_b32 s0, s43
	s_mov_b32 s87, s1
	s_mov_b32 s103, s1
	s_mul_i32 vcc_hi, s46, 15
	s_mul_i32 s30, s72, 15
	s_mov_b32 s72, s55
	s_mov_b32 s73, s1
	;; [unrolled: 1-line block ×3, first 2 shown]
	s_mul_u64 s[76:77], s[76:77], s[34:35]
	s_mov_b32 s88, s65
	s_mov_b32 s46, s69
	;; [unrolled: 1-line block ×3, first 2 shown]
	s_mul_u64 s[64:65], s[0:1], s[28:29]
	s_lshr_b64 s[70:71], s[70:71], 3
	s_mul_u64 s[58:59], s[98:99], s[28:29]
	s_add_nc_u64 s[82:83], s[86:87], s[102:103]
	s_add_nc_u64 s[86:87], s[76:77], s[68:69]
	;; [unrolled: 1-line block ×3, first 2 shown]
	s_lshr_b64 s[68:69], s[80:81], 3
	s_mul_i32 s56, s70, 15
	s_mov_b32 s80, s8
	s_mov_b32 s81, s1
	s_add_nc_u64 s[92:93], s[84:85], s[88:89]
	s_mul_u64 s[72:73], s[96:97], s[34:35]
	s_mul_u64 s[70:71], s[0:1], s[34:35]
	s_mov_b32 s0, s45
	s_mov_b32 s50, s91
	;; [unrolled: 1-line block ×3, first 2 shown]
	s_mul_i32 vcc_lo, s48, 15
	s_mov_b32 s47, s1
	s_mov_b32 s49, s1
	;; [unrolled: 1-line block ×3, first 2 shown]
	s_mul_i32 s31, s68, 15
	s_mul_u64 s[68:69], s[80:81], s[28:29]
	s_mov_b32 s48, s87
	s_add_nc_u64 s[90:91], s[72:73], s[90:91]
	s_mul_u64 s[72:73], s[0:1], s[28:29]
	s_add_nc_u64 s[60:61], s[60:61], s[92:93]
	s_mul_u64 s[92:93], s[0:1], s[34:35]
	s_mov_b32 s0, s9
	s_add_nc_u64 s[82:83], s[78:79], s[82:83]
	s_mov_b32 s78, s69
	s_mov_b32 s79, s1
	s_add_nc_u64 s[84:85], s[72:73], s[100:101]
	s_mul_u64 s[88:89], s[94:95], s[34:35]
	s_mov_b32 s54, s77
	s_mov_b32 s77, s1
	s_add_nc_u64 s[46:47], s[46:47], s[48:49]
	s_mul_u64 s[48:49], s[0:1], s[28:29]
	s_lshr_b64 s[74:75], s[74:75], 3
	s_mov_b32 s51, s1
	s_mul_u64 s[86:87], s[98:99], s[34:35]
	s_sub_co_i32 s97, s8, s52
	s_mov_b32 s52, s91
	s_add_nc_u64 s[76:77], s[88:89], s[76:77]
	s_mov_b32 s58, s85
	s_mov_b32 s85, s1
	s_add_nc_u64 s[48:49], s[48:49], s[78:79]
	s_mul_u64 s[90:91], s[0:1], s[34:35]
	s_sub_co_i32 s0, s8, s31
	s_mul_i32 s31, s74, 15
	s_lshr_b64 s[74:75], s[82:83], 3
	s_mov_b32 s55, s1
	s_mul_u64 s[80:81], s[80:81], s[34:35]
	s_sub_co_i32 s75, s8, s56
	s_add_nc_u64 s[46:47], s[62:63], s[46:47]
	s_add_nc_u64 s[50:51], s[50:51], s[52:53]
	s_mov_b32 s56, s77
	s_add_nc_u64 s[52:53], s[86:87], s[84:85]
	s_mov_b32 s68, s49
	s_mov_b32 s49, s1
	;; [unrolled: 1-line block ×4, first 2 shown]
	s_mul_i32 s72, s74, 15
	s_lshr_b64 s[46:47], s[46:47], 3
	s_add_nc_u64 s[50:51], s[66:67], s[50:51]
	s_add_nc_u64 s[54:55], s[54:55], s[56:57]
	s_mov_b32 s64, s53
	s_add_nc_u64 s[48:49], s[80:81], s[48:49]
	s_mov_b32 s69, s1
	s_mov_b32 s73, s1
	s_sub_co_i32 s56, s8, s72
	s_mul_i32 s57, s46, 15
	s_lshr_b64 s[46:47], s[50:51], 3
	s_add_nc_u64 s[50:51], s[70:71], s[54:55]
	s_add_nc_u64 s[52:53], s[58:59], s[64:65]
	s_mov_b32 s72, s49
	s_mul_i32 s55, s46, 15
	s_lshr_b64 s[46:47], s[50:51], 3
	s_add_nc_u64 s[48:49], s[92:93], s[52:53]
	s_add_nc_u64 s[50:51], s[68:69], s[72:73]
	s_mul_i32 s53, s46, 15
	s_lshr_b64 s[46:47], s[48:49], 3
	s_add_nc_u64 s[48:49], s[90:91], s[50:51]
	s_mul_i32 s51, s46, 15
	s_lshr_b64 s[46:47], s[48:49], 3
	s_sub_co_i32 s94, s8, s104
	s_mul_i32 s46, s46, -15
	s_sub_co_i32 s48, s8, s51
	s_add_co_i32 m0, s8, s46
	s_sub_co_i32 s47, s8, s53
	s_lshr_b64 s[60:61], s[60:61], 3
	s_sub_co_i32 s50, s8, s55
	s_mul_i32 s60, s60, 15
	s_sub_co_i32 s52, s8, s57
	s_sub_co_i32 s54, s8, s60
	;; [unrolled: 1-line block ×4, first 2 shown]
	s_sub_co_i32 s96, s8, vcc_hi
	s_sub_co_i32 s95, s8, vcc_lo
	s_wait_loadcnt 0x0
	v_movreld_b32_e32 v2, v23
	s_add_co_i32 m0, s94, 1
	s_sub_co_i32 s33, s8, s33
	v_movrels_b32_e32 v23, v2
	s_add_co_i32 m0, s48, 2
	s_wait_xcnt 0x0
	v_add_nc_u64_e32 v[34:35], 4, v[34:35]
	v_movrels_b32_e32 v37, v2
	s_add_co_i32 m0, s47, 3
	v_fma_f32 v23, v18, v23, 0
	v_movrels_b32_e32 v41, v2
	s_add_co_i32 m0, s50, 4
	s_add_nc_u64 s[8:9], s[8:9], 1
	v_movrels_b32_e32 v42, v2
	v_fmac_f32_e32 v23, v19, v37
	s_add_co_i32 m0, s52, 5
	s_add_nc_u64 s[6:7], s[6:7], 1
	v_movrels_b32_e32 v43, v2
	s_add_co_i32 m0, s54, 6
	v_fmac_f32_e32 v23, v20, v41
	v_movrels_b32_e32 v38, v2
	s_add_co_i32 m0, s56, 7
	s_add_nc_u64 s[10:11], s[10:11], 1
	v_movrels_b32_e32 v39, v2
	v_fmac_f32_e32 v23, v21, v42
	s_add_co_i32 m0, s31, 8
	s_add_nc_u64 s[12:13], s[12:13], 1
	v_movrels_b32_e32 v40, v2
	v_pk_mul_f32 v[38:39], v[28:29], v[38:39]
	v_fmac_f32_e32 v23, v22, v43
	s_add_co_i32 m0, s75, 9
	s_add_nc_u64 s[14:15], s[14:15], 1
	v_movrels_b32_e32 v41, v2
	s_add_co_i32 m0, s0, 10
	v_add_f32_e32 v23, v23, v38
	v_movrels_b32_e32 v42, v2
	s_add_co_i32 m0, s30, 11
	v_pk_mul_f32 v[40:41], v[24:25], v[40:41]
	v_movrels_b32_e32 v43, v2
	v_add_f32_e32 v23, v23, v39
	s_add_co_i32 m0, s97, 12
	s_add_nc_u64 s[16:17], s[16:17], 1
	v_movrels_b32_e32 v38, v2
	v_pk_mul_f32 v[42:43], v[30:31], v[42:43]
	v_add_f32_e32 v23, v23, v40
	s_add_co_i32 m0, s96, 13
	s_add_nc_u64 s[18:19], s[18:19], 1
	v_movrels_b32_e32 v39, v2
	s_add_co_i32 m0, s95, 14
	v_add_f32_e32 v23, v23, v41
	v_movrels_b32_e32 v40, v2
	s_add_co_i32 m0, s33, 15
	v_pk_mul_f32 v[38:39], v[32:33], v[38:39]
	v_movrels_b32_e32 v41, v2
	v_add_f32_e32 v23, v23, v42
	s_add_nc_u64 s[20:21], s[20:21], 1
	s_add_nc_u64 s[22:23], s[22:23], 1
	;; [unrolled: 1-line block ×3, first 2 shown]
	v_pk_mul_f32 v[40:41], v[26:27], v[40:41]
	v_add_f32_e32 v23, v23, v43
	s_add_nc_u64 s[26:27], s[26:27], 1
	s_add_nc_u64 s[36:37], s[36:37], 1
	;; [unrolled: 1-line block ×4, first 2 shown]
	v_add_f32_e32 v23, v23, v38
	s_add_nc_u64 s[42:43], s[42:43], 1
	s_cmp_eq_u64 s[2:3], s[8:9]
	s_add_nc_u64 s[44:45], s[44:45], 1
	s_delay_alu instid0(VALU_DEP_1) | instskip(NEXT) | instid1(VALU_DEP_1)
	v_add_f32_e32 v23, v23, v39
	v_add_f32_e32 v23, v23, v40
	s_delay_alu instid0(VALU_DEP_1) | instskip(NEXT) | instid1(VALU_DEP_1)
	v_add_f32_e32 v23, v23, v41
	v_add_f32_e32 v23, v36, v23
	s_delay_alu instid0(VALU_DEP_1) | instskip(SKIP_1) | instid1(VALU_DEP_2)
	v_mul_f32_e32 v37, 0xbfb8aa3b, v23
	v_cmp_nlt_f32_e32 vcc_lo, 0x42ce8ed0, v23
	v_fma_f32 v38, 0xbfb8aa3b, v23, -v37
	v_rndne_f32_e32 v39, v37
	s_delay_alu instid0(VALU_DEP_2) | instskip(NEXT) | instid1(VALU_DEP_2)
	v_fmac_f32_e32 v38, 0xb2a5705f, v23
	v_sub_f32_e32 v37, v37, v39
	s_delay_alu instid0(VALU_DEP_1) | instskip(SKIP_1) | instid1(VALU_DEP_2)
	v_add_f32_e32 v37, v37, v38
	v_cvt_i32_f32_e32 v38, v39
	v_exp_f32_e32 v37, v37
	v_nop
	s_delay_alu instid0(TRANS32_DEP_1) | instskip(NEXT) | instid1(VALU_DEP_1)
	v_ldexp_f32 v37, v37, v38
	v_cndmask_b32_e32 v37, 0, v37, vcc_lo
	v_cmp_ngt_f32_e32 vcc_lo, 0xc2b17218, v23
	s_delay_alu instid0(VALU_DEP_2) | instskip(NEXT) | instid1(VALU_DEP_1)
	v_cndmask_b32_e32 v37, 0x7f800000, v37, vcc_lo
	v_add_f32_e32 v37, 1.0, v37
	s_delay_alu instid0(VALU_DEP_1) | instskip(SKIP_1) | instid1(VALU_DEP_2)
	v_div_scale_f32 v38, null, v37, v37, v23
	v_div_scale_f32 v41, vcc_lo, v23, v37, v23
	v_rcp_f32_e32 v39, v38
	v_nop
	s_delay_alu instid0(TRANS32_DEP_1) | instskip(NEXT) | instid1(VALU_DEP_1)
	v_fma_f32 v40, -v38, v39, 1.0
	v_fmac_f32_e32 v39, v40, v39
	s_delay_alu instid0(VALU_DEP_1) | instskip(NEXT) | instid1(VALU_DEP_1)
	v_mul_f32_e32 v40, v41, v39
	v_fma_f32 v42, -v38, v40, v41
	s_delay_alu instid0(VALU_DEP_1) | instskip(NEXT) | instid1(VALU_DEP_1)
	v_fmac_f32_e32 v40, v42, v39
	v_fma_f32 v38, -v38, v40, v41
	s_delay_alu instid0(VALU_DEP_1) | instskip(NEXT) | instid1(VALU_DEP_1)
	v_div_fmas_f32 v38, v38, v39, v40
	v_div_fixup_f32 v23, v38, v37, v23
	global_store_b32 v[0:1], v23, off
	s_wait_xcnt 0x0
	v_add_nc_u64_e32 v[0:1], s[4:5], v[0:1]
	s_cbranch_scc0 .LBB8_5
.LBB8_6:
	s_endpgm
	.section	.rodata,"a",@progbits
	.p2align	6, 0x0
	.amdhsa_kernel _ZL12ssm_conv_f32ILb1ELm128ELm15EEvPKfS1_S1_iiiiPfiiil
		.amdhsa_group_segment_fixed_size 0
		.amdhsa_private_segment_fixed_size 0
		.amdhsa_kernarg_size 72
		.amdhsa_user_sgpr_count 2
		.amdhsa_user_sgpr_dispatch_ptr 0
		.amdhsa_user_sgpr_queue_ptr 0
		.amdhsa_user_sgpr_kernarg_segment_ptr 1
		.amdhsa_user_sgpr_dispatch_id 0
		.amdhsa_user_sgpr_kernarg_preload_length 0
		.amdhsa_user_sgpr_kernarg_preload_offset 0
		.amdhsa_user_sgpr_private_segment_size 0
		.amdhsa_wavefront_size32 1
		.amdhsa_uses_dynamic_stack 0
		.amdhsa_enable_private_segment 0
		.amdhsa_system_sgpr_workgroup_id_x 1
		.amdhsa_system_sgpr_workgroup_id_y 1
		.amdhsa_system_sgpr_workgroup_id_z 0
		.amdhsa_system_sgpr_workgroup_info 0
		.amdhsa_system_vgpr_workitem_id 0
		.amdhsa_next_free_vgpr 44
		.amdhsa_next_free_sgpr 105
		.amdhsa_named_barrier_count 0
		.amdhsa_reserve_vcc 1
		.amdhsa_float_round_mode_32 0
		.amdhsa_float_round_mode_16_64 0
		.amdhsa_float_denorm_mode_32 3
		.amdhsa_float_denorm_mode_16_64 3
		.amdhsa_fp16_overflow 0
		.amdhsa_memory_ordered 1
		.amdhsa_forward_progress 1
		.amdhsa_inst_pref_size 24
		.amdhsa_round_robin_scheduling 0
		.amdhsa_exception_fp_ieee_invalid_op 0
		.amdhsa_exception_fp_denorm_src 0
		.amdhsa_exception_fp_ieee_div_zero 0
		.amdhsa_exception_fp_ieee_overflow 0
		.amdhsa_exception_fp_ieee_underflow 0
		.amdhsa_exception_fp_ieee_inexact 0
		.amdhsa_exception_int_div_zero 0
	.end_amdhsa_kernel
	.section	.text._ZL12ssm_conv_f32ILb1ELm128ELm15EEvPKfS1_S1_iiiiPfiiil,"axG",@progbits,_ZL12ssm_conv_f32ILb1ELm128ELm15EEvPKfS1_S1_iiiiPfiiil,comdat
.Lfunc_end8:
	.size	_ZL12ssm_conv_f32ILb1ELm128ELm15EEvPKfS1_S1_iiiiPfiiil, .Lfunc_end8-_ZL12ssm_conv_f32ILb1ELm128ELm15EEvPKfS1_S1_iiiiPfiiil
                                        ; -- End function
	.set _ZL12ssm_conv_f32ILb1ELm128ELm15EEvPKfS1_S1_iiiiPfiiil.num_vgpr, 44
	.set _ZL12ssm_conv_f32ILb1ELm128ELm15EEvPKfS1_S1_iiiiPfiiil.num_agpr, 0
	.set _ZL12ssm_conv_f32ILb1ELm128ELm15EEvPKfS1_S1_iiiiPfiiil.numbered_sgpr, 105
	.set _ZL12ssm_conv_f32ILb1ELm128ELm15EEvPKfS1_S1_iiiiPfiiil.num_named_barrier, 0
	.set _ZL12ssm_conv_f32ILb1ELm128ELm15EEvPKfS1_S1_iiiiPfiiil.private_seg_size, 0
	.set _ZL12ssm_conv_f32ILb1ELm128ELm15EEvPKfS1_S1_iiiiPfiiil.uses_vcc, 1
	.set _ZL12ssm_conv_f32ILb1ELm128ELm15EEvPKfS1_S1_iiiiPfiiil.uses_flat_scratch, 0
	.set _ZL12ssm_conv_f32ILb1ELm128ELm15EEvPKfS1_S1_iiiiPfiiil.has_dyn_sized_stack, 0
	.set _ZL12ssm_conv_f32ILb1ELm128ELm15EEvPKfS1_S1_iiiiPfiiil.has_recursion, 0
	.set _ZL12ssm_conv_f32ILb1ELm128ELm15EEvPKfS1_S1_iiiiPfiiil.has_indirect_call, 0
	.section	.AMDGPU.csdata,"",@progbits
; Kernel info:
; codeLenInByte = 2980
; TotalNumSgprs: 107
; NumVgprs: 44
; ScratchSize: 0
; MemoryBound: 0
; FloatMode: 240
; IeeeMode: 1
; LDSByteSize: 0 bytes/workgroup (compile time only)
; SGPRBlocks: 0
; VGPRBlocks: 2
; NumSGPRsForWavesPerEU: 107
; NumVGPRsForWavesPerEU: 44
; NamedBarCnt: 0
; Occupancy: 16
; WaveLimiterHint : 0
; COMPUTE_PGM_RSRC2:SCRATCH_EN: 0
; COMPUTE_PGM_RSRC2:USER_SGPR: 2
; COMPUTE_PGM_RSRC2:TRAP_HANDLER: 0
; COMPUTE_PGM_RSRC2:TGID_X_EN: 1
; COMPUTE_PGM_RSRC2:TGID_Y_EN: 1
; COMPUTE_PGM_RSRC2:TGID_Z_EN: 0
; COMPUTE_PGM_RSRC2:TIDIG_COMP_CNT: 0
	.section	.text._ZL23ssm_conv_long_token_f32ILb1ELm128ELm15ELl32EEvPKfS1_S1_iiiiPfiiil,"axG",@progbits,_ZL23ssm_conv_long_token_f32ILb1ELm128ELm15ELl32EEvPKfS1_S1_iiiiPfiiil,comdat
	.globl	_ZL23ssm_conv_long_token_f32ILb1ELm128ELm15ELl32EEvPKfS1_S1_iiiiPfiiil ; -- Begin function _ZL23ssm_conv_long_token_f32ILb1ELm128ELm15ELl32EEvPKfS1_S1_iiiiPfiiil
	.p2align	8
	.type	_ZL23ssm_conv_long_token_f32ILb1ELm128ELm15ELl32EEvPKfS1_S1_iiiiPfiiil,@function
_ZL23ssm_conv_long_token_f32ILb1ELm128ELm15ELl32EEvPKfS1_S1_iiiiPfiiil: ; @_ZL23ssm_conv_long_token_f32ILb1ELm128ELm15ELl32EEvPKfS1_S1_iiiiPfiiil
; %bb.0:
	v_mul_u32_u24_e32 v1, 0x591, v0
	s_bfe_u32 s3, ttmp6, 0x40010
	s_and_b32 s2, ttmp7, 0xffff
	s_add_co_i32 s3, s3, 1
	s_bfe_u32 s8, ttmp6, 0x40004
	v_lshrrev_b32_e32 v1, 16, v1
	s_mul_i32 s3, s2, s3
	s_getreg_b32 s9, hwreg(HW_REG_IB_STS2, 6, 4)
	s_add_co_i32 s8, s8, s3
	s_clause 0x1
	s_load_b64 s[10:11], s[0:1], 0x0
	s_load_b128 s[4:7], s[0:1], 0x18
	v_mul_lo_u16 v2, v1, 46
	s_cmp_eq_u32 s9, 0
	s_cselect_b32 s2, s2, s8
	s_bfe_u32 s3, ttmp6, 0x40014
	s_delay_alu instid0(VALU_DEP_1)
	v_sub_nc_u16 v14, v0, v2
	s_lshr_b32 s8, ttmp7, 16
	s_add_co_i32 s3, s3, 1
	s_bfe_u32 s12, ttmp6, 0x40008
	s_mul_i32 s13, s8, s3
	v_or_b32_e32 v2, 0xffffff80, v14
	v_and_b32_e32 v31, 0xffff, v14
	s_add_co_i32 s12, s12, s13
	s_cmp_eq_u32 s9, 0
	s_mov_b32 s3, 0
	v_lshrrev_b16 v3, 1, v2
	s_cselect_b32 s8, s8, s12
	s_bfe_u32 s12, ttmp6, 0x4000c
	s_and_b32 s15, ttmp6, 15
	s_add_co_i32 s12, s12, 1
	v_and_b32_e32 v3, 0x7f, v3
	s_mul_i32 s12, ttmp9, s12
	s_wait_kmcnt 0x0
	s_mov_b32 s18, s4
	s_add_co_i32 s15, s15, s12
	s_cmp_eq_u32 s9, 0
	v_mul_lo_u16 v3, 0xb3, v3
	s_cselect_b32 s16, ttmp9, s15
	s_lshl_b32 s12, s8, 5
	s_ashr_i32 s8, s5, 2
	s_ashr_i32 s19, s4, 31
	v_lshrrev_b16 v16, 12, v3
	s_mul_i32 s4, s6, s16
	s_mov_b32 s14, s5
	s_lshl_b32 s2, s2, 7
	s_ashr_i32 s15, s5, 31
	v_mul_lo_u16 v3, v16, 46
	v_and_b32_e32 v16, 0xffff, v16
	s_ashr_i32 s5, s4, 31
	s_mov_b32 s13, s3
	s_mul_u64 s[14:15], s[2:3], s[14:15]
	v_sub_nc_u16 v15, v2, v3
	s_add_nc_u64 s[4:5], s[10:11], s[4:5]
	s_mul_u64 s[18:19], s[12:13], s[18:19]
	s_add_nc_u64 s[4:5], s[4:5], s[14:15]
	s_mov_b32 s6, exec_lo
	v_or_b32_e32 v2, 0xffffff80, v15
	v_and_b32_e32 v33, 0xff, v15
	s_add_nc_u64 s[4:5], s[4:5], s[18:19]
	s_delay_alu instid0(VALU_DEP_2) | instskip(NEXT) | instid1(VALU_DEP_1)
	v_lshrrev_b16 v3, 1, v2
	v_and_b32_e32 v3, 0x7f, v3
	s_delay_alu instid0(VALU_DEP_1) | instskip(NEXT) | instid1(VALU_DEP_1)
	v_mul_lo_u16 v3, 0xb3, v3
	v_lshrrev_b16 v17, 12, v3
	s_delay_alu instid0(VALU_DEP_1) | instskip(NEXT) | instid1(VALU_DEP_1)
	v_mul_lo_u16 v3, v17, 46
	v_sub_nc_u16 v19, v2, v3
	s_delay_alu instid0(VALU_DEP_1) | instskip(SKIP_1) | instid1(VALU_DEP_2)
	v_or_b32_e32 v2, 0xffffff80, v19
	v_and_b32_e32 v19, 0xff, v19
	v_lshrrev_b16 v3, 1, v2
	s_delay_alu instid0(VALU_DEP_1) | instskip(NEXT) | instid1(VALU_DEP_1)
	v_and_b32_e32 v3, 0x7f, v3
	v_mul_lo_u16 v3, 0xb3, v3
	s_delay_alu instid0(VALU_DEP_1) | instskip(NEXT) | instid1(VALU_DEP_1)
	v_lshrrev_b16 v20, 12, v3
	v_mul_lo_u16 v3, v20, 46
	v_and_b32_e32 v20, 0xffff, v20
	s_delay_alu instid0(VALU_DEP_2) | instskip(NEXT) | instid1(VALU_DEP_1)
	v_sub_nc_u16 v21, v2, v3
	v_or_b32_e32 v2, 0xffffff80, v21
	v_and_b32_e32 v21, 0xff, v21
	s_delay_alu instid0(VALU_DEP_2) | instskip(NEXT) | instid1(VALU_DEP_1)
	v_lshrrev_b16 v3, 1, v2
	v_and_b32_e32 v3, 0x7f, v3
	s_delay_alu instid0(VALU_DEP_1) | instskip(NEXT) | instid1(VALU_DEP_1)
	v_mul_lo_u16 v3, 0xb3, v3
	v_lshrrev_b16 v22, 12, v3
	s_delay_alu instid0(VALU_DEP_1) | instskip(SKIP_3) | instid1(VALU_DEP_4)
	v_mul_lo_u16 v3, v22, 46
	v_and_b32_e32 v22, 0xffff, v22
	v_add_nc_u32_e32 v32, v1, v16
	v_and_b32_e32 v16, 0xffff, v17
	v_sub_nc_u16 v23, v2, v3
	s_delay_alu instid0(VALU_DEP_2) | instskip(NEXT) | instid1(VALU_DEP_2)
	v_add_nc_u32_e32 v34, v32, v16
	v_or_b32_e32 v2, 0xffffff80, v23
	v_and_b32_e32 v23, 0xff, v23
	s_delay_alu instid0(VALU_DEP_3) | instskip(SKIP_1) | instid1(VALU_DEP_4)
	v_add_nc_u32_e32 v20, v34, v20
	v_mad_u32 v35, v34, s8, v19
	v_lshrrev_b16 v3, 1, v2
	v_lshlrev_b32_e32 v19, 2, v19
	v_mul_u32_u24_e32 v34, 0xb8, v34
	v_add_nc_u32_e32 v22, v20, v22
	v_mad_u32 v16, v32, s8, v33
	v_and_b32_e32 v3, 0x7f, v3
	v_lshlrev_b32_e32 v33, 2, v33
	s_delay_alu instid0(VALU_DEP_2) | instskip(NEXT) | instid1(VALU_DEP_1)
	v_mul_lo_u16 v3, 0xb3, v3
	v_lshrrev_b16 v24, 12, v3
	s_delay_alu instid0(VALU_DEP_1) | instskip(NEXT) | instid1(VALU_DEP_1)
	v_mul_lo_u16 v3, v24, 46
	v_sub_nc_u16 v25, v2, v3
	s_delay_alu instid0(VALU_DEP_1) | instskip(SKIP_1) | instid1(VALU_DEP_2)
	v_or_b32_e32 v2, 0xffffff80, v25
	v_and_b32_e32 v25, 0xff, v25
	v_lshrrev_b16 v3, 1, v2
	s_delay_alu instid0(VALU_DEP_1) | instskip(NEXT) | instid1(VALU_DEP_1)
	v_and_b32_e32 v3, 0x7f, v3
	v_mul_lo_u16 v3, 0xb3, v3
	s_delay_alu instid0(VALU_DEP_1) | instskip(NEXT) | instid1(VALU_DEP_1)
	v_lshrrev_b16 v26, 12, v3
	v_mul_lo_u16 v3, v26, 46
	s_delay_alu instid0(VALU_DEP_1) | instskip(NEXT) | instid1(VALU_DEP_1)
	v_sub_nc_u16 v27, v2, v3
	v_or_b32_e32 v2, 0xffffff80, v27
	v_and_b32_e32 v27, 0xff, v27
	s_delay_alu instid0(VALU_DEP_2) | instskip(NEXT) | instid1(VALU_DEP_1)
	v_lshrrev_b16 v3, 1, v2
	v_and_b32_e32 v3, 0x7f, v3
	s_delay_alu instid0(VALU_DEP_1) | instskip(NEXT) | instid1(VALU_DEP_1)
	v_mul_lo_u16 v3, 0xb3, v3
	v_lshrrev_b16 v28, 12, v3
	s_delay_alu instid0(VALU_DEP_1) | instskip(SKIP_1) | instid1(VALU_DEP_2)
	v_mul_lo_u16 v3, v28, 46
	v_and_b32_e32 v28, 0xffff, v28
	v_sub_nc_u16 v29, v2, v3
	s_delay_alu instid0(VALU_DEP_1) | instskip(SKIP_1) | instid1(VALU_DEP_2)
	v_or_b32_e32 v2, 0xffffff80, v29
	v_and_b32_e32 v29, 0xff, v29
	v_lshrrev_b16 v3, 1, v2
	s_delay_alu instid0(VALU_DEP_1) | instskip(NEXT) | instid1(VALU_DEP_1)
	v_and_b32_e32 v3, 0x7f, v3
	v_mul_lo_u16 v3, 0xb3, v3
	s_delay_alu instid0(VALU_DEP_1) | instskip(NEXT) | instid1(VALU_DEP_1)
	v_lshrrev_b16 v4, 12, v3
	v_mul_lo_u16 v3, v4, 46
	v_and_b32_e32 v4, 0xffff, v4
	s_delay_alu instid0(VALU_DEP_2) | instskip(NEXT) | instid1(VALU_DEP_1)
	v_sub_nc_u16 v2, v2, v3
	v_or_b32_e32 v3, 0xffffff80, v2
	v_and_b32_e32 v2, 0xff, v2
	s_delay_alu instid0(VALU_DEP_2) | instskip(NEXT) | instid1(VALU_DEP_1)
	v_lshrrev_b16 v5, 1, v3
	v_and_b32_e32 v5, 0x7f, v5
	s_delay_alu instid0(VALU_DEP_1) | instskip(NEXT) | instid1(VALU_DEP_1)
	v_mul_lo_u16 v5, 0xb3, v5
	v_lshrrev_b16 v6, 12, v5
	s_delay_alu instid0(VALU_DEP_1) | instskip(SKIP_1) | instid1(VALU_DEP_2)
	v_mul_lo_u16 v5, v6, 46
	v_and_b32_e32 v6, 0xffff, v6
	v_sub_nc_u16 v3, v3, v5
	s_delay_alu instid0(VALU_DEP_1) | instskip(SKIP_1) | instid1(VALU_DEP_2)
	v_or_b32_e32 v5, 0xffffff80, v3
	v_and_b32_e32 v3, 0xff, v3
	v_lshrrev_b16 v7, 1, v5
	s_delay_alu instid0(VALU_DEP_1) | instskip(NEXT) | instid1(VALU_DEP_1)
	v_and_b32_e32 v7, 0x7f, v7
	v_mul_lo_u16 v7, 0xb3, v7
	s_delay_alu instid0(VALU_DEP_1) | instskip(NEXT) | instid1(VALU_DEP_1)
	v_lshrrev_b16 v8, 12, v7
	v_mul_lo_u16 v7, v8, 46
	v_and_b32_e32 v8, 0xffff, v8
	s_delay_alu instid0(VALU_DEP_2) | instskip(NEXT) | instid1(VALU_DEP_1)
	v_sub_nc_u16 v5, v5, v7
	v_or_b32_e32 v7, 0xffffff80, v5
	s_delay_alu instid0(VALU_DEP_1) | instskip(NEXT) | instid1(VALU_DEP_1)
	v_lshrrev_b16 v9, 1, v7
	v_and_b32_e32 v9, 0x7f, v9
	s_delay_alu instid0(VALU_DEP_1) | instskip(NEXT) | instid1(VALU_DEP_1)
	v_mul_lo_u16 v9, 0xb3, v9
	v_lshrrev_b16 v9, 12, v9
	s_delay_alu instid0(VALU_DEP_1) | instskip(SKIP_1) | instid1(VALU_DEP_2)
	v_mul_lo_u16 v10, v9, 46
	v_and_b32_e32 v9, 0xffff, v9
	v_sub_nc_u16 v7, v7, v10
	s_delay_alu instid0(VALU_DEP_1) | instskip(NEXT) | instid1(VALU_DEP_1)
	v_or_b32_e32 v10, 0xffffff80, v7
	v_lshrrev_b16 v11, 1, v10
	s_delay_alu instid0(VALU_DEP_1) | instskip(NEXT) | instid1(VALU_DEP_1)
	v_and_b32_e32 v11, 0x7f, v11
	v_mul_lo_u16 v11, 0xb3, v11
	s_delay_alu instid0(VALU_DEP_1) | instskip(NEXT) | instid1(VALU_DEP_1)
	v_lshrrev_b16 v12, 12, v11
	v_mul_lo_u16 v11, v12, 46
	v_and_b32_e32 v12, 0xffff, v12
	s_delay_alu instid0(VALU_DEP_2) | instskip(NEXT) | instid1(VALU_DEP_1)
	v_sub_nc_u16 v11, v10, v11
	v_or_b32_e32 v10, 0xffffff80, v11
	v_and_b32_e32 v11, 0xff, v11
	s_delay_alu instid0(VALU_DEP_2) | instskip(NEXT) | instid1(VALU_DEP_1)
	v_lshrrev_b16 v13, 1, v10
	v_and_b32_e32 v13, 0x7f, v13
	s_delay_alu instid0(VALU_DEP_1) | instskip(NEXT) | instid1(VALU_DEP_1)
	v_mul_lo_u16 v13, 0xb3, v13
	v_lshrrev_b16 v13, 12, v13
	s_delay_alu instid0(VALU_DEP_1) | instskip(SKIP_1) | instid1(VALU_DEP_2)
	v_mul_lo_u16 v18, v13, 46
	v_and_b32_e32 v13, 0xffff, v13
	v_sub_nc_u16 v10, v10, v18
	s_delay_alu instid0(VALU_DEP_1) | instskip(SKIP_1) | instid1(VALU_DEP_2)
	v_or_b32_e32 v30, 0xffffff80, v10
	v_and_b32_e32 v10, 0xff, v10
	v_lshrrev_b16 v18, 1, v30
	s_delay_alu instid0(VALU_DEP_1) | instskip(NEXT) | instid1(VALU_DEP_1)
	v_and_b32_e32 v18, 0x7f, v18
	v_mul_lo_u16 v14, 0xb3, v18
	s_delay_alu instid0(VALU_DEP_1) | instskip(NEXT) | instid1(VALU_DEP_1)
	v_lshrrev_b16 v18, 12, v14
	v_mul_lo_u16 v14, v18, 46
	v_and_b32_e32 v18, 0xffff, v18
	s_delay_alu instid0(VALU_DEP_2) | instskip(SKIP_3) | instid1(VALU_DEP_4)
	v_sub_nc_u16 v14, v30, v14
	v_mad_u32 v30, s8, v1, v31
	v_lshlrev_b32_e32 v31, 2, v31
	v_mul_u32_u24_e32 v1, 0xb8, v1
	v_or_b32_e32 v17, 0xffffff80, v14
	v_and_b32_e32 v14, 0xff, v14
	s_delay_alu instid0(VALU_DEP_3) | instskip(SKIP_1) | instid1(VALU_DEP_4)
	v_add3_u32 v1, 0, v1, v31
	v_mul_u32_u24_e32 v31, 0xb8, v32
	v_lshrrev_b16 v15, 1, v17
	s_clause 0x2
	global_load_b32 v30, v30, s[4:5] scale_offset
	global_load_b32 v37, v16, s[4:5] scale_offset
	;; [unrolled: 1-line block ×3, first 2 shown]
	v_add3_u32 v31, 0, v31, v33
	v_and_b32_e32 v15, 0x7f, v15
	s_delay_alu instid0(VALU_DEP_1) | instskip(NEXT) | instid1(VALU_DEP_1)
	v_mul_lo_u16 v15, 0xb3, v15
	v_lshrrev_b16 v36, 12, v15
	v_mad_u32 v15, v20, s8, v21
	v_lshlrev_b32_e32 v21, 2, v21
	v_add3_u32 v19, 0, v34, v19
	s_wait_xcnt 0x1
	v_mul_lo_u16 v16, v36, 46
	s_wait_xcnt 0x0
	s_delay_alu instid0(VALU_DEP_1)
	v_sub_nc_u16 v35, v17, v16
	v_mad_u32 v16, v22, s8, v23
	global_load_b32 v39, v15, s[4:5] scale_offset
	v_lshlrev_b32_e32 v23, 2, v23
	global_load_b32 v40, v16, s[4:5] scale_offset
	s_wait_xcnt 0x1
	v_or_b32_e32 v15, 0xffffff80, v35
	s_delay_alu instid0(VALU_DEP_1) | instskip(SKIP_1) | instid1(VALU_DEP_1)
	v_lshrrev_b16 v17, 1, v15
	s_wait_xcnt 0x0
	v_and_b32_e32 v16, 0x7f, v17
	s_delay_alu instid0(VALU_DEP_1) | instskip(NEXT) | instid1(VALU_DEP_1)
	v_mul_lo_u16 v16, 0xb3, v16
	v_lshrrev_b16 v41, 12, v16
	v_and_b32_e32 v16, 0xffff, v24
	s_delay_alu instid0(VALU_DEP_2) | instskip(NEXT) | instid1(VALU_DEP_2)
	v_mul_lo_u16 v17, v41, 46
	v_add_nc_u32_e32 v24, v22, v16
	v_mul_u32_u24_e32 v22, 0xb8, v22
	s_delay_alu instid0(VALU_DEP_3) | instskip(SKIP_1) | instid1(VALU_DEP_4)
	v_sub_nc_u16 v42, v15, v17
	v_and_b32_e32 v15, 0xffff, v26
	v_mad_u32 v44, v24, s8, v25
	v_lshlrev_b32_e32 v25, 2, v25
	s_delay_alu instid0(VALU_DEP_4) | instskip(NEXT) | instid1(VALU_DEP_4)
	v_or_b32_e32 v26, 0xffffff80, v42
	v_add_nc_u32_e32 v43, v24, v15
	v_mul_u32_u24_e32 v20, 0xb8, v20
	v_mul_u32_u24_e32 v24, 0xb8, v24
	s_delay_alu instid0(VALU_DEP_4) | instskip(NEXT) | instid1(VALU_DEP_4)
	v_lshrrev_b16 v15, 1, v26
	v_mad_u32 v45, v43, s8, v27
	v_add_nc_u32_e32 v28, v43, v28
	v_add3_u32 v20, 0, v20, v21
	v_add3_u32 v21, 0, v22, v23
	v_and_b32_e32 v15, 0x7f, v15
	v_mul_lo_u32 v22, 0xb8, v43
	v_dual_lshlrev_b32 v27, 2, v27 :: v_dual_add_nc_u32 v4, v28, v4
	s_clause 0x1
	global_load_b32 v16, v44, s[4:5] scale_offset
	global_load_b32 v17, v45, s[4:5] scale_offset
	v_mul_lo_u16 v15, 0xb3, v15
	s_wait_xcnt 0x0
	v_mad_u32 v45, v28, s8, v29
	v_add3_u32 v24, 0, v24, v25
	v_mul_lo_u32 v25, 0xb8, v28
	v_add_nc_u32_e32 v6, v4, v6
	v_lshrrev_b16 v44, 12, v15
	v_add3_u32 v22, 0, v22, v27
	s_delay_alu instid0(VALU_DEP_3) | instskip(NEXT) | instid1(VALU_DEP_3)
	v_dual_lshlrev_b32 v27, 2, v29 :: v_dual_add_nc_u32 v8, v6, v8
	v_mul_lo_u16 v15, v44, 46
	v_mad_u32 v33, v6, s8, v3
	v_mul_lo_u32 v6, 0xb8, v6
	s_delay_alu instid0(VALU_DEP_4) | instskip(NEXT) | instid1(VALU_DEP_4)
	v_add_nc_u32_e32 v9, v8, v9
	v_sub_nc_u16 v26, v26, v15
	global_load_b32 v15, v45, s[4:5] scale_offset
	v_add3_u32 v25, 0, v25, v27
	v_mad_u32 v27, v4, s8, v2
	v_mul_lo_u32 v4, 0xb8, v4
	v_or_b32_e32 v46, 0xffffff80, v26
	v_and_b32_e32 v26, 0xff, v26
	v_lshlrev_b32_e32 v2, 2, v2
	s_wait_xcnt 0x0
	s_delay_alu instid0(VALU_DEP_3) | instskip(NEXT) | instid1(VALU_DEP_1)
	v_lshrrev_b16 v45, 1, v46
	v_and_b32_e32 v45, 0x7f, v45
	s_delay_alu instid0(VALU_DEP_3) | instskip(NEXT) | instid1(VALU_DEP_2)
	v_add3_u32 v2, 0, v4, v2
	v_mul_lo_u16 v45, 0xb3, v45
	s_delay_alu instid0(VALU_DEP_1) | instskip(NEXT) | instid1(VALU_DEP_1)
	v_lshrrev_b16 v45, 12, v45
	v_mul_lo_u16 v47, v45, 46
	s_delay_alu instid0(VALU_DEP_1) | instskip(NEXT) | instid1(VALU_DEP_1)
	v_sub_nc_u16 v46, v46, v47
	v_or_b32_e32 v47, 0xffffff80, v46
	s_delay_alu instid0(VALU_DEP_1) | instskip(NEXT) | instid1(VALU_DEP_1)
	v_lshrrev_b16 v48, 1, v47
	v_and_b32_e32 v48, 0x7f, v48
	s_delay_alu instid0(VALU_DEP_1) | instskip(NEXT) | instid1(VALU_DEP_1)
	v_mul_lo_u16 v48, 0xb3, v48
	v_lshrrev_b16 v48, 12, v48
	s_delay_alu instid0(VALU_DEP_1) | instskip(NEXT) | instid1(VALU_DEP_1)
	v_mul_lo_u16 v49, v48, 46
	v_sub_nc_u16 v47, v47, v49
	s_delay_alu instid0(VALU_DEP_1) | instskip(NEXT) | instid1(VALU_DEP_1)
	v_or_b32_e32 v49, 0xffffff80, v47
	v_lshrrev_b16 v50, 1, v49
	s_delay_alu instid0(VALU_DEP_1) | instskip(NEXT) | instid1(VALU_DEP_1)
	v_and_b32_e32 v50, 0x7f, v50
	v_mul_lo_u16 v50, 0xb3, v50
	s_delay_alu instid0(VALU_DEP_1) | instskip(NEXT) | instid1(VALU_DEP_1)
	v_lshrrev_b16 v50, 12, v50
	v_mul_lo_u16 v51, v50, 46
	v_and_b32_e32 v50, 0xffff, v50
	s_delay_alu instid0(VALU_DEP_2) | instskip(NEXT) | instid1(VALU_DEP_1)
	v_sub_nc_u16 v49, v49, v51
	v_or_b32_e32 v51, 0xffffff80, v49
	v_and_b32_e32 v49, 0xff, v49
	s_delay_alu instid0(VALU_DEP_2) | instskip(NEXT) | instid1(VALU_DEP_1)
	v_lshrrev_b16 v52, 1, v51
	v_and_b32_e32 v52, 0x7f, v52
	s_delay_alu instid0(VALU_DEP_1) | instskip(NEXT) | instid1(VALU_DEP_1)
	v_mul_lo_u16 v52, 0xb3, v52
	v_lshrrev_b16 v52, 12, v52
	s_delay_alu instid0(VALU_DEP_1) | instskip(NEXT) | instid1(VALU_DEP_1)
	v_mul_lo_u16 v53, v52, 46
	v_sub_nc_u16 v51, v51, v53
	s_delay_alu instid0(VALU_DEP_1) | instskip(SKIP_1) | instid1(VALU_DEP_2)
	v_or_b32_e32 v53, 0xffffff80, v51
	v_and_b32_e32 v51, 0xff, v51
	v_lshrrev_b16 v54, 1, v53
	s_delay_alu instid0(VALU_DEP_1) | instskip(NEXT) | instid1(VALU_DEP_1)
	v_and_b32_e32 v54, 0x7f, v54
	v_mul_lo_u16 v54, 0xb3, v54
	s_delay_alu instid0(VALU_DEP_1) | instskip(NEXT) | instid1(VALU_DEP_1)
	v_lshrrev_b16 v54, 12, v54
	v_mul_lo_u16 v55, v54, 46
	s_delay_alu instid0(VALU_DEP_1) | instskip(NEXT) | instid1(VALU_DEP_1)
	v_sub_nc_u16 v53, v53, v55
	v_or_b32_e32 v55, 0xffffff80, v53
	v_and_b32_e32 v53, 0xff, v53
	s_delay_alu instid0(VALU_DEP_2) | instskip(NEXT) | instid1(VALU_DEP_1)
	v_lshrrev_b16 v32, 1, v55
	v_and_b32_e32 v32, 0x7f, v32
	s_delay_alu instid0(VALU_DEP_1) | instskip(NEXT) | instid1(VALU_DEP_1)
	v_mul_lo_u16 v32, 0xb3, v32
	v_lshrrev_b16 v23, 12, v32
	s_delay_alu instid0(VALU_DEP_1) | instskip(SKIP_1) | instid1(VALU_DEP_2)
	v_mul_lo_u16 v32, v23, 46
	v_and_b32_e32 v23, 0xffff, v23
	v_sub_nc_u16 v28, v55, v32
	s_delay_alu instid0(VALU_DEP_1)
	v_or_b32_e32 v29, 0xffffff80, v28
	v_and_b32_e32 v28, 0xff, v28
	s_wait_loadcnt 0x7
	ds_store_b32 v1, v30
	s_wait_loadcnt 0x6
	ds_store_b32 v31, v37
	;; [unrolled: 2-line block ×3, first 2 shown]
	v_and_b32_e32 v19, 0xffff, v36
	v_lshrrev_b16 v32, 1, v29
	v_add_nc_u32_e32 v12, v9, v12
	v_and_b32_e32 v1, 0xff, v5
	v_and_b32_e32 v5, 0xff, v7
	v_lshlrev_b32_e32 v3, 2, v3
	v_and_b32_e32 v32, 0x7f, v32
	v_add_nc_u32_e32 v13, v12, v13
	v_mad_u32 v30, v8, s8, v1
	v_mul_lo_u32 v8, 0xb8, v8
	v_lshlrev_b32_e32 v1, 2, v1
	v_mul_lo_u16 v7, 0xb3, v32
	v_add_nc_u32_e32 v18, v13, v18
	v_mad_u32 v32, v9, s8, v5
	v_mul_lo_u32 v9, 0xb8, v9
	v_lshlrev_b32_e32 v5, 2, v5
	v_lshrrev_b16 v7, 12, v7
	v_add_nc_u32_e32 v19, v18, v19
	v_mad_u32 v34, v12, s8, v11
	v_mul_lo_u32 v12, 0xb8, v12
	v_lshlrev_b32_e32 v11, 2, v11
	v_mul_lo_u16 v43, v7, 46
	v_and_b32_e32 v7, 0xffff, v7
	v_add3_u32 v3, 0, v6, v3
	v_mul_lo_u32 v6, 0xb8, v13
	v_add3_u32 v1, 0, v8, v1
	v_sub_nc_u16 v29, v29, v43
	s_clause 0x4
	global_load_b32 v31, v27, s[4:5] scale_offset
	global_load_b32 v36, v33, s[4:5] scale_offset
	global_load_b32 v37, v30, s[4:5] scale_offset
	global_load_b32 v38, v32, s[4:5] scale_offset
	global_load_b32 v43, v34, s[4:5] scale_offset
	s_wait_loadcnt 0x9
	ds_store_b32 v20, v39
	s_wait_xcnt 0x2
	v_and_b32_e32 v30, 0xffff, v41
	v_and_b32_e32 v33, 0xffff, v44
	v_or_b32_e32 v27, 0xffffff80, v29
	s_wait_xcnt 0x1
	v_mad_u32 v32, v13, s8, v10
	s_wait_loadcnt 0x8
	ds_store_b32 v21, v40
	v_and_b32_e32 v21, 0xff, v35
	v_and_b32_e32 v35, 0xffff, v45
	v_lshrrev_b16 v20, 1, v27
	v_add_nc_u32_e32 v30, v19, v30
	v_and_b32_e32 v40, 0xff, v42
	v_and_b32_e32 v42, 0xffff, v48
	s_wait_xcnt 0x0
	v_mad_u32 v34, v18, s8, v14
	v_and_b32_e32 v20, 0x7f, v20
	v_add_nc_u32_e32 v33, v30, v33
	v_mad_u32 v39, v19, s8, v21
	v_and_b32_e32 v41, 0xff, v46
	v_and_b32_e32 v29, 0xff, v29
	v_mul_lo_u16 v20, 0xb3, v20
	v_add_nc_u32_e32 v35, v33, v35
	v_mad_u32 v44, v30, s8, v40
	v_add3_u32 v4, 0, v9, v5
	v_add3_u32 v5, 0, v12, v11
	v_lshrrev_b16 v20, 12, v20
	v_add_nc_u32_e32 v42, v35, v42
	v_mad_u32 v46, v33, s8, v26
	v_mad_u32 v48, v35, s8, v41
	v_mul_lo_u32 v11, 0xb8, v35
	v_mul_lo_u16 v45, v20, 46
	v_dual_lshlrev_b32 v8, 2, v21 :: v_dual_lshlrev_b32 v9, 2, v40
	s_delay_alu instid0(VALU_DEP_2)
	v_sub_nc_u16 v27, v27, v45
	s_clause 0x2
	global_load_b32 v45, v32, s[4:5] scale_offset
	global_load_b32 v55, v34, s[4:5] scale_offset
	;; [unrolled: 1-line block ×3, first 2 shown]
	s_wait_xcnt 0x2
	v_and_b32_e32 v32, 0xff, v47
	s_wait_xcnt 0x1
	v_add_nc_u32_e32 v34, v42, v50
	s_wait_xcnt 0x0
	v_and_b32_e32 v39, 0xffff, v52
	v_or_b32_e32 v47, 0xffffff80, v27
	s_clause 0x2
	global_load_b32 v50, v44, s[4:5] scale_offset
	global_load_b32 v52, v46, s[4:5] scale_offset
	;; [unrolled: 1-line block ×3, first 2 shown]
	s_wait_xcnt 0x2
	v_and_b32_e32 v44, 0xffff, v54
	s_wait_loadcnt 0xd
	ds_store_b32 v24, v16
	s_wait_loadcnt 0xc
	ds_store_b32 v22, v17
	s_wait_xcnt 0x1
	v_lshrrev_b16 v46, 1, v47
	v_and_b32_e32 v16, 0xffff, v20
	v_add_nc_u32_e32 v39, v34, v39
	s_wait_xcnt 0x0
	v_mad_u32 v48, v42, s8, v32
	v_and_b32_e32 v27, 0xff, v27
	v_and_b32_e32 v46, 0x7f, v46
	v_add_nc_u32_e32 v44, v39, v44
	v_mad_u32 v54, v34, s8, v49
	s_delay_alu instid0(VALU_DEP_3) | instskip(NEXT) | instid1(VALU_DEP_3)
	v_mul_lo_u16 v46, 0xb3, v46
	v_add_nc_u32_e32 v23, v44, v23
	v_mad_u32 v59, v44, s8, v53
	s_delay_alu instid0(VALU_DEP_3) | instskip(NEXT) | instid1(VALU_DEP_1)
	v_lshrrev_b16 v46, 12, v46
	v_mul_lo_u16 v17, v46, 46
	v_and_b32_e32 v46, 0xffff, v46
	v_add_nc_u32_e32 v7, v23, v7
	s_delay_alu instid0(VALU_DEP_3) | instskip(NEXT) | instid1(VALU_DEP_2)
	v_sub_nc_u16 v17, v47, v17
	v_add_nc_u32_e32 v16, v7, v16
	v_mad_u32 v58, v39, s8, v51
	s_clause 0x3
	global_load_b32 v20, v48, s[4:5] scale_offset
	global_load_b32 v22, v54, s[4:5] scale_offset
	;; [unrolled: 1-line block ×4, first 2 shown]
	v_add_nc_u32_e32 v46, v16, v46
	v_and_b32_e32 v47, 0xff, v17
	s_wait_loadcnt 0xf
	ds_store_b32 v25, v15
	v_mad_u32 v15, v23, s8, v28
	v_mad_u32 v25, v7, s8, v29
	s_wait_xcnt 0x3
	v_mad_u32 v48, v16, s8, v27
	s_wait_xcnt 0x2
	v_mad_u32 v54, v46, s8, v47
	s_clause 0x3
	global_load_b32 v58, v15, s[4:5] scale_offset
	global_load_b32 v59, v25, s[4:5] scale_offset
	;; [unrolled: 1-line block ×4, first 2 shown]
	s_wait_loadcnt 0x12
	ds_store_b32 v2, v31
	s_wait_loadcnt 0x11
	ds_store_b32 v3, v36
	;; [unrolled: 2-line block ×5, first 2 shown]
	v_mul_lo_u32 v2, 0xb8, v18
	v_lshlrev_b32_e32 v1, 2, v10
	v_mul_lo_u32 v3, 0xb8, v19
	v_mul_lo_u32 v4, 0xb8, v30
	;; [unrolled: 1-line block ×3, first 2 shown]
	v_lshlrev_b32_e32 v10, 2, v26
	v_add3_u32 v1, 0, v6, v1
	v_lshlrev_b32_e32 v6, 2, v14
	s_wait_loadcnt 0xd
	ds_store_b32 v1, v45
	v_add3_u32 v1, 0, v2, v6
	v_add3_u32 v2, 0, v3, v8
	;; [unrolled: 1-line block ×4, first 2 shown]
	v_lshlrev_b32_e32 v5, 2, v41
	s_wait_loadcnt 0xc
	ds_store_b32 v1, v55
	s_wait_loadcnt 0xb
	ds_store_b32 v2, v56
	;; [unrolled: 2-line block ×4, first 2 shown]
	v_mul_lo_u32 v2, 0xb8, v42
	v_mul_lo_u32 v3, 0xb8, v34
	;; [unrolled: 1-line block ×3, first 2 shown]
	v_add3_u32 v1, 0, v11, v5
	v_or_b32_e32 v5, 0xffffff80, v17
	v_lshlrev_b32_e32 v8, 2, v49
	v_mul_lo_u32 v6, 0xb8, v44
	v_dual_lshlrev_b32 v10, 2, v51 :: v_dual_lshlrev_b32 v11, 2, v53
	s_wait_loadcnt 0x8
	ds_store_b32 v1, v57
	v_lshlrev_b32_e32 v1, 2, v32
	v_lshrrev_b16 v9, 1, v5
	v_add3_u32 v4, 0, v4, v10
	v_lshlrev_b32_e32 v10, 2, v47
	s_delay_alu instid0(VALU_DEP_4)
	v_add3_u32 v1, 0, v2, v1
	v_add3_u32 v2, 0, v3, v8
	v_and_b32_e32 v3, 0x7f, v9
	v_mul_lo_u32 v8, 0xb8, v23
	v_add3_u32 v6, 0, v6, v11
	s_wait_loadcnt 0x7
	ds_store_b32 v1, v20
	v_mul_lo_u16 v1, 0xb3, v3
	s_wait_loadcnt 0x6
	ds_store_b32 v2, v22
	s_wait_loadcnt 0x5
	ds_store_b32 v4, v24
	;; [unrolled: 2-line block ×3, first 2 shown]
	v_lshlrev_b32_e32 v2, 2, v28
	v_mul_lo_u32 v3, 0xb8, v7
	v_lshrrev_b16 v1, 12, v1
	v_mul_lo_u32 v4, 0xb8, v16
	v_mul_lo_u32 v6, 0xb8, v46
	v_add3_u32 v7, 0, v8, v2
	v_lshlrev_b32_e32 v8, 2, v29
	v_mul_lo_u16 v2, v1, 46
	v_and_b32_e32 v1, 0xffff, v1
	v_lshlrev_b32_e32 v9, 2, v27
	s_delay_alu instid0(VALU_DEP_3) | instskip(NEXT) | instid1(VALU_DEP_3)
	v_sub_nc_u16 v2, v5, v2
	v_add_nc_u32_e32 v1, v46, v1
	v_add3_u32 v3, 0, v3, v8
	s_delay_alu instid0(VALU_DEP_4)
	v_add3_u32 v4, 0, v4, v9
	v_add3_u32 v5, 0, v6, v10
	v_and_b32_e32 v2, 0xff, v2
	s_wait_loadcnt 0x3
	ds_store_b32 v7, v58
	s_wait_loadcnt 0x2
	ds_store_b32 v3, v59
	;; [unrolled: 2-line block ×4, first 2 shown]
	v_cmpx_gt_u32_e32 0x80, v1
	s_cbranch_execz .LBB9_2
; %bb.1:
	v_mad_u32 v3, v1, s8, v2
	v_mul_lo_u32 v4, 0xb8, v1
	v_lshlrev_b32_e32 v5, 2, v2
	global_load_b32 v3, v3, s[4:5] scale_offset
	v_add3_u32 v4, 0, v4, v5
	s_wait_loadcnt 0x0
	ds_store_b32 v4, v3
.LBB9_2:
	s_or_b32 exec_lo, exec_lo, s6
	v_or_b32_e32 v2, 0xffffff80, v2
	s_mov_b32 s6, exec_lo
	s_delay_alu instid0(VALU_DEP_1) | instskip(NEXT) | instid1(VALU_DEP_1)
	v_lshrrev_b16 v3, 1, v2
	v_and_b32_e32 v3, 0x7f, v3
	s_delay_alu instid0(VALU_DEP_1) | instskip(NEXT) | instid1(VALU_DEP_1)
	v_mul_lo_u16 v3, 0xb3, v3
	v_lshrrev_b16 v3, 12, v3
	s_delay_alu instid0(VALU_DEP_1) | instskip(SKIP_1) | instid1(VALU_DEP_2)
	v_mul_lo_u16 v4, v3, 46
	v_and_b32_e32 v3, 0xffff, v3
	v_sub_nc_u16 v2, v2, v4
	s_delay_alu instid0(VALU_DEP_2) | instskip(NEXT) | instid1(VALU_DEP_2)
	v_add_nc_u32_e32 v1, v1, v3
	v_and_b32_e32 v2, 0xff, v2
	s_delay_alu instid0(VALU_DEP_2)
	v_cmpx_gt_u32_e32 0x80, v1
	s_cbranch_execz .LBB9_4
; %bb.3:
	s_delay_alu instid0(VALU_DEP_2)
	v_mad_u32 v3, v1, s8, v2
	v_mul_lo_u32 v4, 0xb8, v1
	v_lshlrev_b32_e32 v5, 2, v2
	global_load_b32 v3, v3, s[4:5] scale_offset
	v_add3_u32 v4, 0, v4, v5
	s_wait_loadcnt 0x0
	ds_store_b32 v4, v3
.LBB9_4:
	s_or_b32 exec_lo, exec_lo, s6
	s_delay_alu instid0(VALU_DEP_2) | instskip(SKIP_1) | instid1(VALU_DEP_1)
	v_or_b32_e32 v2, 0xffffff80, v2
	s_mov_b32 s6, exec_lo
	v_lshrrev_b16 v3, 1, v2
	s_delay_alu instid0(VALU_DEP_1) | instskip(NEXT) | instid1(VALU_DEP_1)
	v_and_b32_e32 v3, 0x7f, v3
	v_mul_lo_u16 v3, 0xb3, v3
	s_delay_alu instid0(VALU_DEP_1) | instskip(NEXT) | instid1(VALU_DEP_1)
	v_lshrrev_b16 v3, 12, v3
	v_mul_lo_u16 v4, v3, 46
	v_and_b32_e32 v3, 0xffff, v3
	s_delay_alu instid0(VALU_DEP_2) | instskip(NEXT) | instid1(VALU_DEP_2)
	v_sub_nc_u16 v2, v2, v4
	v_add_nc_u32_e32 v1, v1, v3
	s_delay_alu instid0(VALU_DEP_2) | instskip(NEXT) | instid1(VALU_DEP_2)
	v_and_b32_e32 v2, 0xff, v2
	v_cmpx_gt_u32_e32 0x80, v1
	s_cbranch_execz .LBB9_6
; %bb.5:
	s_delay_alu instid0(VALU_DEP_2)
	v_mad_u32 v3, v1, s8, v2
	v_mul_lo_u32 v4, 0xb8, v1
	v_lshlrev_b32_e32 v5, 2, v2
	global_load_b32 v3, v3, s[4:5] scale_offset
	v_add3_u32 v4, 0, v4, v5
	s_wait_loadcnt 0x0
	ds_store_b32 v4, v3
.LBB9_6:
	s_or_b32 exec_lo, exec_lo, s6
	s_delay_alu instid0(VALU_DEP_2) | instskip(SKIP_1) | instid1(VALU_DEP_1)
	v_or_b32_e32 v2, 0xffffff80, v2
	s_mov_b32 s6, exec_lo
	v_lshrrev_b16 v3, 1, v2
	s_delay_alu instid0(VALU_DEP_1) | instskip(NEXT) | instid1(VALU_DEP_1)
	v_and_b32_e32 v3, 0x7f, v3
	v_mul_lo_u16 v3, 0xb3, v3
	s_delay_alu instid0(VALU_DEP_1) | instskip(NEXT) | instid1(VALU_DEP_1)
	v_lshrrev_b16 v3, 12, v3
	v_mul_lo_u16 v4, v3, 46
	v_and_b32_e32 v3, 0xffff, v3
	s_delay_alu instid0(VALU_DEP_2) | instskip(NEXT) | instid1(VALU_DEP_2)
	v_sub_nc_u16 v2, v2, v4
	v_add_nc_u32_e32 v1, v1, v3
	s_delay_alu instid0(VALU_DEP_2) | instskip(NEXT) | instid1(VALU_DEP_2)
	v_and_b32_e32 v2, 0xff, v2
	;; [unrolled: 29-line block ×10, first 2 shown]
	v_cmpx_gt_u32_e32 0x80, v1
	s_cbranch_execz .LBB9_24
; %bb.23:
	s_delay_alu instid0(VALU_DEP_2)
	v_mad_u32 v3, v1, s8, v2
	v_mul_lo_u32 v4, 0xb8, v1
	v_lshlrev_b32_e32 v5, 2, v2
	global_load_b32 v3, v3, s[4:5] scale_offset
	v_add3_u32 v4, 0, v4, v5
	s_wait_loadcnt 0x0
	ds_store_b32 v4, v3
.LBB9_24:
	s_or_b32 exec_lo, exec_lo, s6
	s_delay_alu instid0(SALU_CYCLE_1)
	s_mov_b32 s6, exec_lo
	v_cmpx_gt_u32_e32 0x380, v0
	s_cbranch_execz .LBB9_45
; %bb.25:
	v_or_b32_e32 v2, 0xffffff80, v2
	s_mov_b32 s9, exec_lo
	s_delay_alu instid0(VALU_DEP_1) | instskip(NEXT) | instid1(VALU_DEP_1)
	v_lshrrev_b16 v3, 1, v2
	v_and_b32_e32 v3, 0x7f, v3
	s_delay_alu instid0(VALU_DEP_1) | instskip(NEXT) | instid1(VALU_DEP_1)
	v_mul_lo_u16 v3, 0xb3, v3
	v_lshrrev_b16 v3, 12, v3
	s_delay_alu instid0(VALU_DEP_1) | instskip(SKIP_1) | instid1(VALU_DEP_2)
	v_mul_lo_u16 v4, v3, 46
	v_and_b32_e32 v3, 0xffff, v3
	v_sub_nc_u16 v2, v2, v4
	s_delay_alu instid0(VALU_DEP_2) | instskip(NEXT) | instid1(VALU_DEP_2)
	v_add_nc_u32_e32 v1, v1, v3
	v_and_b32_e32 v2, 0xff, v2
	s_delay_alu instid0(VALU_DEP_2)
	v_cmpx_gt_u32_e32 0x80, v1
	s_cbranch_execz .LBB9_27
; %bb.26:
	s_delay_alu instid0(VALU_DEP_2)
	v_mad_u32 v3, v1, s8, v2
	v_mul_lo_u32 v4, 0xb8, v1
	v_lshlrev_b32_e32 v5, 2, v2
	global_load_b32 v3, v3, s[4:5] scale_offset
	v_add3_u32 v4, 0, v4, v5
	s_wait_loadcnt 0x0
	ds_store_b32 v4, v3
.LBB9_27:
	s_or_b32 exec_lo, exec_lo, s9
	v_cmp_gt_u32_e32 vcc_lo, 0x300, v0
	s_and_b32 exec_lo, exec_lo, vcc_lo
	s_cbranch_execz .LBB9_45
; %bb.28:
	v_or_b32_e32 v2, 0xffffff80, v2
	s_mov_b32 s9, exec_lo
	s_delay_alu instid0(VALU_DEP_1) | instskip(NEXT) | instid1(VALU_DEP_1)
	v_lshrrev_b16 v3, 1, v2
	v_and_b32_e32 v3, 0x7f, v3
	s_delay_alu instid0(VALU_DEP_1) | instskip(NEXT) | instid1(VALU_DEP_1)
	v_mul_lo_u16 v3, 0xb3, v3
	v_lshrrev_b16 v3, 12, v3
	s_delay_alu instid0(VALU_DEP_1) | instskip(SKIP_1) | instid1(VALU_DEP_2)
	v_mul_lo_u16 v4, v3, 46
	v_and_b32_e32 v3, 0xffff, v3
	v_sub_nc_u16 v2, v2, v4
	s_delay_alu instid0(VALU_DEP_2) | instskip(NEXT) | instid1(VALU_DEP_2)
	v_add_nc_u32_e32 v1, v1, v3
	v_and_b32_e32 v2, 0xff, v2
	s_delay_alu instid0(VALU_DEP_2)
	v_cmpx_gt_u32_e32 0x80, v1
	s_cbranch_execz .LBB9_30
; %bb.29:
	s_delay_alu instid0(VALU_DEP_2)
	v_mad_u32 v3, v1, s8, v2
	v_mul_lo_u32 v4, 0xb8, v1
	v_lshlrev_b32_e32 v5, 2, v2
	global_load_b32 v3, v3, s[4:5] scale_offset
	v_add3_u32 v4, 0, v4, v5
	s_wait_loadcnt 0x0
	ds_store_b32 v4, v3
.LBB9_30:
	s_or_b32 exec_lo, exec_lo, s9
	v_cmp_gt_u32_e32 vcc_lo, 0x280, v0
	s_and_b32 exec_lo, exec_lo, vcc_lo
	;; [unrolled: 33-line block ×6, first 2 shown]
	s_cbranch_execz .LBB9_45
; %bb.43:
	v_or_b32_e32 v2, 0x80, v2
	s_delay_alu instid0(VALU_DEP_1) | instskip(NEXT) | instid1(VALU_DEP_1)
	v_lshrrev_b16 v3, 1, v2
	v_mul_lo_u16 v3, 0xb3, v3
	s_delay_alu instid0(VALU_DEP_1) | instskip(NEXT) | instid1(VALU_DEP_1)
	v_lshrrev_b16 v3, 12, v3
	v_and_b32_e32 v4, 0xffff, v3
	s_delay_alu instid0(VALU_DEP_1) | instskip(NEXT) | instid1(VALU_DEP_1)
	v_add_nc_u32_e32 v1, v1, v4
	v_cmp_gt_u32_e32 vcc_lo, 0x80, v1
	s_and_b32 exec_lo, exec_lo, vcc_lo
	s_cbranch_execz .LBB9_45
; %bb.44:
	v_mul_lo_u16 v3, v3, 46
	s_delay_alu instid0(VALU_DEP_1) | instskip(NEXT) | instid1(VALU_DEP_1)
	v_sub_nc_u16 v2, v2, v3
	v_and_b32_e32 v2, 0xff, v2
	s_delay_alu instid0(VALU_DEP_1)
	v_mad_u32 v3, v1, s8, v2
	v_mul_lo_u32 v1, 0xb8, v1
	v_lshlrev_b32_e32 v2, 2, v2
	global_load_b32 v3, v3, s[4:5] scale_offset
	v_add3_u32 v1, 0, v1, v2
	s_wait_loadcnt 0x0
	ds_store_b32 v1, v3
.LBB9_45:
	s_or_b32 exec_lo, exec_lo, s6
	s_clause 0x1
	s_load_b128 s[8:11], s[0:1], 0x8
	s_load_b64 s[14:15], s[0:1], 0x28
	s_ashr_i32 s4, s7, 2
	s_ashr_i32 s5, s7, 31
	v_mul_lo_u32 v14, s4, v0
	s_mov_b32 s4, s7
	s_wait_dscnt 0x0
	s_mul_u64 s[4:5], s[2:3], s[4:5]
	s_barrier_signal -1
	s_barrier_wait -1
	s_delay_alu instid0(VALU_DEP_1) | instskip(SKIP_3) | instid1(VALU_DEP_1)
	v_ashrrev_i32_e32 v15, 31, v14
	s_wait_kmcnt 0x0
	s_add_nc_u64 s[4:5], s[8:9], s[4:5]
	s_cmp_eq_u64 s[10:11], 0
	v_lshl_add_u64 v[16:17], v[14:15], 2, s[4:5]
	s_clause 0x4
	global_load_b64 v[26:27], v[16:17], off offset:48
	global_load_b128 v[10:13], v[16:17], off offset:32
	global_load_b128 v[2:5], v[16:17], off offset:16
	global_load_b32 v15, v14, s[4:5] offset:56 scale_offset
	global_load_b128 v[6:9], v[16:17], off
	s_cbranch_scc1 .LBB9_47
; %bb.46:
	s_wait_xcnt 0x1
	s_lshl_b64 s[4:5], s[2:3], 2
	s_delay_alu instid0(SALU_CYCLE_1)
	s_add_nc_u64 s[4:5], s[10:11], s[4:5]
	global_load_b32 v16, v0, s[4:5] scale_offset
	s_branch .LBB9_48
.LBB9_47:
	s_wait_xcnt 0x0
	v_mov_b32_e32 v16, 0
.LBB9_48:
	s_wait_xcnt 0x0
	s_load_b64 s[4:5], s[0:1], 0x40
	s_wait_kmcnt 0x0
	s_sub_nc_u64 s[4:5], s[4:5], s[12:13]
	s_delay_alu instid0(SALU_CYCLE_1)
	v_cmp_lt_i64_e64 s6, s[4:5], 1
	s_and_b32 vcc_lo, exec_lo, s6
	s_cbranch_vccnz .LBB9_56
; %bb.49:
	v_min_u64 v[28:29], s[4:5], 32
	s_load_b96 s[8:10], s[0:1], 0x30
	s_wait_loadcnt 0x2
	v_dual_mov_b32 v18, v3 :: v_dual_mov_b32 v19, v4
	v_dual_mov_b32 v20, v5 :: v_dual_mov_b32 v21, v10
	;; [unrolled: 1-line block ×5, first 2 shown]
	v_mul_u32_u24_e32 v54, 0xb8, v0
	v_lshlrev_b32_e32 v0, 2, v0
	s_wait_kmcnt 0x0
	s_mul_i32 s10, s10, s16
	s_ashr_i32 s7, s9, 31
	s_ashr_i32 s17, s8, 31
	;; [unrolled: 1-line block ×4, first 2 shown]
	s_cmp_eq_u64 s[4:5], 1
	s_mov_b32 s6, s9
	s_cselect_b32 s1, -1, 0
	s_cmp_lg_u32 s0, 1
	s_mov_b32 s16, s8
	s_cselect_b32 s8, -1, 0
	s_mul_u64 s[4:5], s[12:13], s[6:7]
	s_mul_u64 s[6:7], s[2:3], s[16:17]
	v_readfirstlane_b32 s2, v28
	v_readfirstlane_b32 s3, v29
	s_or_b32 s1, s1, s8
	s_add_nc_u64 s[8:9], s[14:15], s[10:11]
	s_and_b32 vcc_lo, exec_lo, s1
	s_cbranch_vccnz .LBB9_53
; %bb.50:
	s_wait_loadcnt 0x0
	v_dual_mov_b32 v28, v6 :: v_dual_add_nc_u32 v55, 0, v54
	s_add_nc_u64 s[10:11], s[8:9], s[4:5]
	v_dual_mov_b32 v29, v6 :: v_dual_mov_b32 v32, v7
	ds_load_2addr_b32 v[50:51], v55 offset1:1
	s_add_nc_u64 s[10:11], s[10:11], s[6:7]
	v_dual_mov_b32 v33, v7 :: v_dual_mov_b32 v34, v8
	v_add_nc_u64_e32 v[30:31], s[10:11], v[0:1]
	v_dual_mov_b32 v35, v8 :: v_dual_mov_b32 v36, v9
	v_dual_mov_b32 v37, v9 :: v_dual_mov_b32 v38, v2
	;; [unrolled: 1-line block ×11, first 2 shown]
	s_and_b64 s[10:11], s[2:3], 62
	s_delay_alu instid0(SALU_CYCLE_1)
	s_mov_b64 s[12:13], s[10:11]
.LBB9_51:                               ; =>This Inner Loop Header: Depth=1
	ds_load_2addr_b32 v[56:57], v55 offset0:1 offset1:2
	ds_load_2addr_b32 v[58:59], v55 offset0:3 offset1:4
	s_wait_dscnt 0x2
	v_pk_fma_f32 v[50:51], v[28:29], v[50:51], 0 op_sel_hi:[1,1,0]
	s_add_nc_u64 s[12:13], s[12:13], -2
	s_delay_alu instid0(SALU_CYCLE_1) | instskip(SKIP_1) | instid1(VALU_DEP_1)
	s_cmp_lg_u64 s[12:13], 0
	s_wait_dscnt 0x1
	v_pk_fma_f32 v[56:57], v[32:33], v[56:57], v[50:51]
	ds_load_2addr_b32 v[50:51], v55 offset0:2 offset1:3
	s_wait_dscnt 0x0
	v_pk_fma_f32 v[56:57], v[34:35], v[50:51], v[56:57]
	s_delay_alu instid0(VALU_DEP_1)
	v_pk_fma_f32 v[56:57], v[36:37], v[58:59], v[56:57]
	ds_load_2addr_b32 v[58:59], v55 offset0:4 offset1:5
	s_wait_dscnt 0x0
	v_pk_fma_f32 v[56:57], v[38:39], v[58:59], v[56:57]
	ds_load_2addr_b32 v[58:59], v55 offset0:5 offset1:6
	s_wait_dscnt 0x0
	;; [unrolled: 3-line block ×11, first 2 shown]
	v_pk_fma_f32 v[56:57], v[52:53], v[58:59], v[56:57]
	s_delay_alu instid0(VALU_DEP_1) | instskip(NEXT) | instid1(VALU_DEP_1)
	v_pk_add_f32 v[56:57], v[16:17], v[56:57]
	v_mul_f32_e32 v3, 0xbfb8aa3b, v57
	v_cmp_nlt_f32_e32 vcc_lo, 0x42ce8ed0, v57
	s_delay_alu instid0(VALU_DEP_2) | instskip(SKIP_2) | instid1(VALU_DEP_3)
	v_rndne_f32_e32 v58, v3
	v_add_nc_u32_e32 v1, 8, v55
	v_fma_f32 v55, 0xbfb8aa3b, v57, -v3
	v_sub_f32_e32 v3, v3, v58
	s_delay_alu instid0(VALU_DEP_2) | instskip(NEXT) | instid1(VALU_DEP_1)
	v_fmac_f32_e32 v55, 0xb2a5705f, v57
	v_add_f32_e32 v3, v3, v55
	v_cvt_i32_f32_e32 v55, v58
	s_delay_alu instid0(VALU_DEP_2) | instskip(SKIP_1) | instid1(TRANS32_DEP_1)
	v_exp_f32_e32 v3, v3
	v_nop
	v_ldexp_f32 v3, v3, v55
	s_delay_alu instid0(VALU_DEP_1) | instskip(SKIP_1) | instid1(VALU_DEP_2)
	v_cndmask_b32_e32 v3, 0, v3, vcc_lo
	v_cmp_ngt_f32_e32 vcc_lo, 0xc2b17218, v57
	v_cndmask_b32_e32 v59, 0x7f800000, v3, vcc_lo
	v_mul_f32_e32 v3, 0xbfb8aa3b, v56
	v_cmp_nlt_f32_e32 vcc_lo, 0x42ce8ed0, v56
	s_delay_alu instid0(VALU_DEP_2) | instskip(SKIP_1) | instid1(VALU_DEP_2)
	v_fma_f32 v55, 0xbfb8aa3b, v56, -v3
	v_rndne_f32_e32 v58, v3
	v_fmac_f32_e32 v55, 0xb2a5705f, v56
	s_delay_alu instid0(VALU_DEP_2) | instskip(NEXT) | instid1(VALU_DEP_1)
	v_sub_f32_e32 v3, v3, v58
	v_add_f32_e32 v3, v3, v55
	v_cvt_i32_f32_e32 v55, v58
	s_delay_alu instid0(VALU_DEP_2) | instskip(SKIP_1) | instid1(TRANS32_DEP_1)
	v_exp_f32_e32 v3, v3
	v_nop
	v_ldexp_f32 v3, v3, v55
	s_delay_alu instid0(VALU_DEP_1) | instskip(SKIP_1) | instid1(VALU_DEP_2)
	v_cndmask_b32_e32 v3, 0, v3, vcc_lo
	v_cmp_ngt_f32_e32 vcc_lo, 0xc2b17218, v56
	v_cndmask_b32_e32 v58, 0x7f800000, v3, vcc_lo
	s_delay_alu instid0(VALU_DEP_1) | instskip(NEXT) | instid1(VALU_DEP_1)
	v_pk_add_f32 v[58:59], v[58:59], 1.0 op_sel_hi:[1,0]
	v_div_scale_f32 v3, null, v59, v59, v57
	s_delay_alu instid0(VALU_DEP_1) | instskip(SKIP_1) | instid1(TRANS32_DEP_1)
	v_rcp_f32_e32 v55, v3
	v_nop
	v_fma_f32 v60, -v3, v55, 1.0
	s_delay_alu instid0(VALU_DEP_1) | instskip(SKIP_1) | instid1(VALU_DEP_1)
	v_fmac_f32_e32 v55, v60, v55
	v_div_scale_f32 v60, vcc_lo, v57, v59, v57
	v_mul_f32_e32 v61, v60, v55
	s_delay_alu instid0(VALU_DEP_1) | instskip(NEXT) | instid1(VALU_DEP_1)
	v_fma_f32 v62, -v3, v61, v60
	v_fmac_f32_e32 v61, v62, v55
	s_delay_alu instid0(VALU_DEP_1) | instskip(NEXT) | instid1(VALU_DEP_1)
	v_fma_f32 v3, -v3, v61, v60
	v_div_fmas_f32 v3, v3, v55, v61
	s_delay_alu instid0(VALU_DEP_1) | instskip(SKIP_1) | instid1(VALU_DEP_1)
	v_div_fixup_f32 v57, v3, v59, v57
	v_div_scale_f32 v3, null, v58, v58, v56
	v_rcp_f32_e32 v55, v3
	v_nop
	s_delay_alu instid0(TRANS32_DEP_1) | instskip(NEXT) | instid1(VALU_DEP_1)
	v_fma_f32 v59, -v3, v55, 1.0
	v_fmac_f32_e32 v55, v59, v55
	v_div_scale_f32 v59, vcc_lo, v56, v58, v56
	s_delay_alu instid0(VALU_DEP_1) | instskip(NEXT) | instid1(VALU_DEP_1)
	v_mul_f32_e32 v60, v59, v55
	v_fma_f32 v61, -v3, v60, v59
	s_delay_alu instid0(VALU_DEP_1) | instskip(NEXT) | instid1(VALU_DEP_1)
	v_fmac_f32_e32 v60, v61, v55
	v_fma_f32 v3, -v3, v60, v59
	s_delay_alu instid0(VALU_DEP_1) | instskip(SKIP_1) | instid1(VALU_DEP_2)
	v_div_fmas_f32 v3, v3, v55, v60
	v_mov_b32_e32 v55, v1
	v_div_fixup_f32 v56, v3, v58, v56
	global_store_b64 v[30:31], v[56:57], off
	s_wait_xcnt 0x0
	v_add_nc_u64_e32 v[30:31], 8, v[30:31]
	s_cbranch_scc1 .LBB9_51
; %bb.52:
	s_cmp_lg_u64 s[2:3], s[10:11]
	s_cselect_b32 s1, -1, 0
	s_delay_alu instid0(SALU_CYCLE_1)
	s_and_b32 vcc_lo, exec_lo, s1
	s_cbranch_vccnz .LBB9_54
	s_branch .LBB9_56
.LBB9_53:
	s_mov_b64 s[10:11], 0
	s_cbranch_execz .LBB9_56
.LBB9_54:
	s_lshl_b32 s1, s10, 2
	s_add_nc_u64 s[4:5], s[6:7], s[4:5]
	v_add3_u32 v3, 0, s1, v54
	s_ashr_i32 s1, s0, 31
	v_mov_b32_e32 v1, 0
	s_mul_u64 s[12:13], s[10:11], s[0:1]
	s_sub_nc_u64 s[2:3], s[2:3], s[10:11]
	ds_load_b32 v4, v3
	s_lshl_b64 s[6:7], s[12:13], 2
	s_lshl_b64 s[0:1], s[0:1], 2
	s_add_nc_u64 s[4:5], s[4:5], s[6:7]
	s_delay_alu instid0(SALU_CYCLE_1) | instskip(NEXT) | instid1(SALU_CYCLE_1)
	s_add_nc_u64 s[4:5], s[8:9], s[4:5]
	v_add_nc_u64_e32 v[0:1], s[4:5], v[0:1]
.LBB9_55:                               ; =>This Inner Loop Header: Depth=1
	s_wait_loadcnt_dscnt 0x0
	v_fma_f32 v17, v6, v4, 0
	ds_load_2addr_b32 v[4:5], v3 offset0:1 offset1:2
	ds_load_2addr_b32 v[10:11], v3 offset0:3 offset1:4
	;; [unrolled: 1-line block ×5, first 2 shown]
	s_add_nc_u64 s[2:3], s[2:3], -1
	s_delay_alu instid0(SALU_CYCLE_1)
	s_cmp_lg_u64 s[2:3], 0
	s_wait_dscnt 0x2
	v_pk_mul_f32 v[12:13], v[18:19], v[12:13]
	v_fmac_f32_e32 v17, v7, v4
	s_wait_dscnt 0x1
	v_pk_mul_f32 v[26:27], v[20:21], v[26:27]
	s_delay_alu instid0(VALU_DEP_2) | instskip(NEXT) | instid1(VALU_DEP_1)
	v_fmac_f32_e32 v17, v8, v5
	v_fmac_f32_e32 v17, v9, v10
	s_delay_alu instid0(VALU_DEP_1) | instskip(SKIP_2) | instid1(VALU_DEP_1)
	v_fmac_f32_e32 v17, v2, v11
	ds_load_2addr_b32 v[10:11], v3 offset0:11 offset1:12
	v_add_f32_e32 v5, v17, v12
	v_add_f32_e32 v5, v5, v13
	ds_load_2addr_b32 v[12:13], v3 offset0:13 offset1:14
	s_wait_dscnt 0x2
	v_pk_mul_f32 v[28:29], v[22:23], v[28:29]
	v_dual_add_nc_u32 v3, 4, v3 :: v_dual_add_f32 v5, v5, v26
	s_delay_alu instid0(VALU_DEP_1) | instskip(SKIP_2) | instid1(VALU_DEP_2)
	v_add_f32_e32 v5, v5, v27
	s_wait_dscnt 0x1
	v_pk_mul_f32 v[10:11], v[24:25], v[10:11]
	v_add_f32_e32 v5, v5, v28
	s_delay_alu instid0(VALU_DEP_1) | instskip(SKIP_2) | instid1(VALU_DEP_2)
	v_add_f32_e32 v5, v5, v29
	s_wait_dscnt 0x0
	v_pk_mul_f32 v[12:13], v[14:15], v[12:13]
	v_add_f32_e32 v5, v5, v10
	s_delay_alu instid0(VALU_DEP_1) | instskip(NEXT) | instid1(VALU_DEP_1)
	v_add_f32_e32 v5, v5, v11
	v_add_f32_e32 v5, v5, v12
	s_delay_alu instid0(VALU_DEP_1) | instskip(NEXT) | instid1(VALU_DEP_1)
	v_add_f32_e32 v5, v5, v13
	v_add_f32_e32 v5, v16, v5
	s_delay_alu instid0(VALU_DEP_1) | instskip(SKIP_1) | instid1(VALU_DEP_2)
	v_mul_f32_e32 v10, 0xbfb8aa3b, v5
	v_cmp_nlt_f32_e32 vcc_lo, 0x42ce8ed0, v5
	v_fma_f32 v11, 0xbfb8aa3b, v5, -v10
	v_rndne_f32_e32 v12, v10
	s_delay_alu instid0(VALU_DEP_1) | instskip(NEXT) | instid1(VALU_DEP_1)
	v_dual_fmac_f32 v11, 0xb2a5705f, v5 :: v_dual_sub_f32 v10, v10, v12
	v_add_f32_e32 v10, v10, v11
	v_cvt_i32_f32_e32 v11, v12
	s_delay_alu instid0(VALU_DEP_2) | instskip(SKIP_1) | instid1(TRANS32_DEP_1)
	v_exp_f32_e32 v10, v10
	v_nop
	v_ldexp_f32 v10, v10, v11
	s_delay_alu instid0(VALU_DEP_1) | instskip(SKIP_1) | instid1(VALU_DEP_2)
	v_cndmask_b32_e32 v10, 0, v10, vcc_lo
	v_cmp_ngt_f32_e32 vcc_lo, 0xc2b17218, v5
	v_cndmask_b32_e32 v10, 0x7f800000, v10, vcc_lo
	s_delay_alu instid0(VALU_DEP_1) | instskip(NEXT) | instid1(VALU_DEP_1)
	v_add_f32_e32 v10, 1.0, v10
	v_div_scale_f32 v11, null, v10, v10, v5
	v_div_scale_f32 v17, vcc_lo, v5, v10, v5
	s_delay_alu instid0(VALU_DEP_2) | instskip(SKIP_1) | instid1(TRANS32_DEP_1)
	v_rcp_f32_e32 v12, v11
	v_nop
	v_fma_f32 v13, -v11, v12, 1.0
	s_delay_alu instid0(VALU_DEP_1) | instskip(NEXT) | instid1(VALU_DEP_1)
	v_fmac_f32_e32 v12, v13, v12
	v_mul_f32_e32 v13, v17, v12
	s_delay_alu instid0(VALU_DEP_1) | instskip(NEXT) | instid1(VALU_DEP_1)
	v_fma_f32 v26, -v11, v13, v17
	v_fmac_f32_e32 v13, v26, v12
	s_delay_alu instid0(VALU_DEP_1) | instskip(NEXT) | instid1(VALU_DEP_1)
	v_fma_f32 v11, -v11, v13, v17
	v_div_fmas_f32 v11, v11, v12, v13
	s_delay_alu instid0(VALU_DEP_1)
	v_div_fixup_f32 v5, v11, v10, v5
	global_store_b32 v[0:1], v5, off
	s_wait_xcnt 0x0
	v_add_nc_u64_e32 v[0:1], s[0:1], v[0:1]
	s_cbranch_scc1 .LBB9_55
.LBB9_56:
	s_endpgm
	.section	.rodata,"a",@progbits
	.p2align	6, 0x0
	.amdhsa_kernel _ZL23ssm_conv_long_token_f32ILb1ELm128ELm15ELl32EEvPKfS1_S1_iiiiPfiiil
		.amdhsa_group_segment_fixed_size 0
		.amdhsa_private_segment_fixed_size 0
		.amdhsa_kernarg_size 72
		.amdhsa_user_sgpr_count 2
		.amdhsa_user_sgpr_dispatch_ptr 0
		.amdhsa_user_sgpr_queue_ptr 0
		.amdhsa_user_sgpr_kernarg_segment_ptr 1
		.amdhsa_user_sgpr_dispatch_id 0
		.amdhsa_user_sgpr_kernarg_preload_length 0
		.amdhsa_user_sgpr_kernarg_preload_offset 0
		.amdhsa_user_sgpr_private_segment_size 0
		.amdhsa_wavefront_size32 1
		.amdhsa_uses_dynamic_stack 0
		.amdhsa_enable_private_segment 0
		.amdhsa_system_sgpr_workgroup_id_x 1
		.amdhsa_system_sgpr_workgroup_id_y 1
		.amdhsa_system_sgpr_workgroup_id_z 1
		.amdhsa_system_sgpr_workgroup_info 0
		.amdhsa_system_vgpr_workitem_id 0
		.amdhsa_next_free_vgpr 63
		.amdhsa_next_free_sgpr 20
		.amdhsa_named_barrier_count 0
		.amdhsa_reserve_vcc 1
		.amdhsa_float_round_mode_32 0
		.amdhsa_float_round_mode_16_64 0
		.amdhsa_float_denorm_mode_32 3
		.amdhsa_float_denorm_mode_16_64 3
		.amdhsa_fp16_overflow 0
		.amdhsa_memory_ordered 1
		.amdhsa_forward_progress 1
		.amdhsa_inst_pref_size 76
		.amdhsa_round_robin_scheduling 0
		.amdhsa_exception_fp_ieee_invalid_op 0
		.amdhsa_exception_fp_denorm_src 0
		.amdhsa_exception_fp_ieee_div_zero 0
		.amdhsa_exception_fp_ieee_overflow 0
		.amdhsa_exception_fp_ieee_underflow 0
		.amdhsa_exception_fp_ieee_inexact 0
		.amdhsa_exception_int_div_zero 0
	.end_amdhsa_kernel
	.section	.text._ZL23ssm_conv_long_token_f32ILb1ELm128ELm15ELl32EEvPKfS1_S1_iiiiPfiiil,"axG",@progbits,_ZL23ssm_conv_long_token_f32ILb1ELm128ELm15ELl32EEvPKfS1_S1_iiiiPfiiil,comdat
.Lfunc_end9:
	.size	_ZL23ssm_conv_long_token_f32ILb1ELm128ELm15ELl32EEvPKfS1_S1_iiiiPfiiil, .Lfunc_end9-_ZL23ssm_conv_long_token_f32ILb1ELm128ELm15ELl32EEvPKfS1_S1_iiiiPfiiil
                                        ; -- End function
	.set _ZL23ssm_conv_long_token_f32ILb1ELm128ELm15ELl32EEvPKfS1_S1_iiiiPfiiil.num_vgpr, 63
	.set _ZL23ssm_conv_long_token_f32ILb1ELm128ELm15ELl32EEvPKfS1_S1_iiiiPfiiil.num_agpr, 0
	.set _ZL23ssm_conv_long_token_f32ILb1ELm128ELm15ELl32EEvPKfS1_S1_iiiiPfiiil.numbered_sgpr, 20
	.set _ZL23ssm_conv_long_token_f32ILb1ELm128ELm15ELl32EEvPKfS1_S1_iiiiPfiiil.num_named_barrier, 0
	.set _ZL23ssm_conv_long_token_f32ILb1ELm128ELm15ELl32EEvPKfS1_S1_iiiiPfiiil.private_seg_size, 0
	.set _ZL23ssm_conv_long_token_f32ILb1ELm128ELm15ELl32EEvPKfS1_S1_iiiiPfiiil.uses_vcc, 1
	.set _ZL23ssm_conv_long_token_f32ILb1ELm128ELm15ELl32EEvPKfS1_S1_iiiiPfiiil.uses_flat_scratch, 0
	.set _ZL23ssm_conv_long_token_f32ILb1ELm128ELm15ELl32EEvPKfS1_S1_iiiiPfiiil.has_dyn_sized_stack, 0
	.set _ZL23ssm_conv_long_token_f32ILb1ELm128ELm15ELl32EEvPKfS1_S1_iiiiPfiiil.has_recursion, 0
	.set _ZL23ssm_conv_long_token_f32ILb1ELm128ELm15ELl32EEvPKfS1_S1_iiiiPfiiil.has_indirect_call, 0
	.section	.AMDGPU.csdata,"",@progbits
; Kernel info:
; codeLenInByte = 9636
; TotalNumSgprs: 22
; NumVgprs: 63
; ScratchSize: 0
; MemoryBound: 0
; FloatMode: 240
; IeeeMode: 1
; LDSByteSize: 0 bytes/workgroup (compile time only)
; SGPRBlocks: 0
; VGPRBlocks: 3
; NumSGPRsForWavesPerEU: 22
; NumVGPRsForWavesPerEU: 63
; NamedBarCnt: 0
; Occupancy: 16
; WaveLimiterHint : 0
; COMPUTE_PGM_RSRC2:SCRATCH_EN: 0
; COMPUTE_PGM_RSRC2:USER_SGPR: 2
; COMPUTE_PGM_RSRC2:TRAP_HANDLER: 0
; COMPUTE_PGM_RSRC2:TGID_X_EN: 1
; COMPUTE_PGM_RSRC2:TGID_Y_EN: 1
; COMPUTE_PGM_RSRC2:TGID_Z_EN: 1
; COMPUTE_PGM_RSRC2:TIDIG_COMP_CNT: 0
	.section	.text._ZL12ssm_conv_f32ILb0ELm128ELm3EEvPKfS1_S1_iiiiPfiiil,"axG",@progbits,_ZL12ssm_conv_f32ILb0ELm128ELm3EEvPKfS1_S1_iiiiPfiiil,comdat
	.globl	_ZL12ssm_conv_f32ILb0ELm128ELm3EEvPKfS1_S1_iiiiPfiiil ; -- Begin function _ZL12ssm_conv_f32ILb0ELm128ELm3EEvPKfS1_S1_iiiiPfiiil
	.p2align	8
	.type	_ZL12ssm_conv_f32ILb0ELm128ELm3EEvPKfS1_S1_iiiiPfiiil,@function
_ZL12ssm_conv_f32ILb0ELm128ELm3EEvPKfS1_S1_iiiiPfiiil: ; @_ZL12ssm_conv_f32ILb0ELm128ELm3EEvPKfS1_S1_iiiiPfiiil
; %bb.0:
	s_load_b64 s[4:5], s[0:1], 0x10
	s_bfe_u32 s2, ttmp6, 0x40010
	s_bfe_u32 s3, ttmp6, 0x40004
	s_add_co_i32 s2, s2, 1
	s_getreg_b32 s7, hwreg(HW_REG_IB_STS2, 6, 4)
	s_mul_i32 s2, ttmp7, s2
	s_delay_alu instid0(SALU_CYCLE_1) | instskip(SKIP_2) | instid1(SALU_CYCLE_1)
	s_add_co_i32 s3, s3, s2
	s_cmp_eq_u32 s7, 0
	s_cselect_b32 s2, ttmp7, s3
	s_ashr_i32 s3, s2, 31
	s_delay_alu instid0(SALU_CYCLE_1)
	s_lshl_b64 s[2:3], s[2:3], 7
	s_wait_kmcnt 0x0
	s_cmp_eq_u64 s[4:5], 0
	s_cbranch_scc1 .LBB10_2
; %bb.1:
	s_lshl_b64 s[8:9], s[2:3], 2
	s_delay_alu instid0(SALU_CYCLE_1)
	s_add_nc_u64 s[4:5], s[4:5], s[8:9]
	global_load_b32 v9, v0, s[4:5] scale_offset
	s_load_b64 s[12:13], s[0:1], 0x40
	s_wait_kmcnt 0x0
	v_cmp_lt_i64_e64 s4, s[12:13], 1
	s_and_b32 vcc_lo, exec_lo, s4
	s_cbranch_vccz .LBB10_3
	s_branch .LBB10_6
.LBB10_2:
	v_mov_b32_e32 v9, 0
	s_load_b64 s[12:13], s[0:1], 0x40
	s_wait_kmcnt 0x0
	v_cmp_lt_i64_e64 s4, s[12:13], 1
	s_and_b32 vcc_lo, exec_lo, s4
	s_cbranch_vccnz .LBB10_6
.LBB10_3:
	s_clause 0x1
	s_load_b96 s[4:6], s[0:1], 0x1c
	s_load_b128 s[8:11], s[0:1], 0x0
	s_bfe_u32 s14, ttmp6, 0x4000c
	s_and_b32 s15, ttmp6, 15
	s_add_co_i32 s14, s14, 1
	s_delay_alu instid0(SALU_CYCLE_1) | instskip(NEXT) | instid1(SALU_CYCLE_1)
	s_mul_i32 s14, ttmp9, s14
	s_add_co_i32 s14, s15, s14
	s_wait_kmcnt 0x0
	s_ashr_i32 s15, s6, 31
	s_ashr_i32 s16, s6, 2
	s_cmp_eq_u32 s7, 0
	v_mul_lo_u32 v2, s16, v0
	s_cselect_b32 s16, ttmp9, s14
	s_ashr_i32 s7, s4, 2
	s_mov_b32 s14, s6
	v_mul_lo_u32 v4, s7, v0
	s_mul_u64 s[6:7], s[2:3], s[14:15]
	s_mul_i32 s14, s5, s16
	s_ashr_i32 s5, s4, 31
	s_ashr_i32 s15, s14, 31
	s_mul_u64 s[4:5], s[2:3], s[4:5]
	s_add_nc_u64 s[8:9], s[8:9], s[14:15]
	v_ashrrev_i32_e32 v3, 31, v2
	s_add_nc_u64 s[6:7], s[10:11], s[6:7]
	s_add_nc_u64 s[4:5], s[8:9], s[4:5]
	s_delay_alu instid0(VALU_DEP_2) | instskip(NEXT) | instid1(VALU_DEP_2)
	v_ashrrev_i32_e32 v5, 31, v4
	v_lshl_add_u64 v[10:11], v[2:3], 2, s[6:7]
	s_delay_alu instid0(VALU_DEP_2)
	v_lshl_add_u64 v[12:13], v[4:5], 2, s[4:5]
	global_load_b96 v[2:4], v[10:11], off
	global_load_b96 v[6:8], v[12:13], off
	s_clause 0x1
	s_load_b96 s[4:6], s[0:1], 0x30
	s_load_b64 s[8:9], s[0:1], 0x28
	s_wait_kmcnt 0x0
	s_mul_i32 s0, s6, s16
	s_ashr_i32 s7, s4, 31
	s_ashr_i32 s1, s0, 31
	s_mov_b32 s6, s4
	s_add_nc_u64 s[0:1], s[8:9], s[0:1]
	s_mul_u64 s[6:7], s[2:3], s[6:7]
	s_cmp_eq_u64 s[12:13], 1
	s_add_nc_u64 s[8:9], s[0:1], s[6:7]
	s_mov_b32 s3, 0
	s_wait_loadcnt 0x1
	v_dual_mov_b32 v10, v3 :: v_dual_mov_b32 v11, v4
	s_wait_loadcnt 0x0
	v_dual_mov_b32 v4, v7 :: v_dual_mov_b32 v5, v8
	v_fma_f32 v1, v2, v6, 0
	s_delay_alu instid0(VALU_DEP_2) | instskip(NEXT) | instid1(VALU_DEP_1)
	v_pk_mul_f32 v[4:5], v[10:11], v[4:5]
	v_add_f32_e32 v1, v1, v4
	s_delay_alu instid0(VALU_DEP_1) | instskip(NEXT) | instid1(VALU_DEP_1)
	v_dual_add_f32 v1, v1, v5 :: v_dual_mov_b32 v5, 0
	v_add_f32_e32 v1, v9, v1
	global_store_b32 v0, v1, s[8:9] scale_offset
	s_cbranch_scc1 .LBB10_6
; %bb.4:
	s_ashr_i32 s4, s5, 2
	v_lshlrev_b32_e32 v4, 2, v0
	s_ashr_i32 s5, s4, 31
	s_wait_xcnt 0x0
	v_add_nc_u64_e32 v[0:1], 12, v[12:13]
	s_lshl_b64 s[4:5], s[4:5], 2
	s_mov_b64 s[8:9], 0xffffffff
	s_add_nc_u64 s[6:7], s[6:7], s[4:5]
	s_mov_b64 s[10:11], 0xaaaaaaaa
	s_add_nc_u64 s[0:1], s[0:1], s[6:7]
	s_mov_b64 s[6:7], 0xaaaaaaab
	v_add_nc_u64_e32 v[4:5], s[0:1], v[4:5]
	s_add_nc_u64 s[12:13], s[12:13], -1
	s_mov_b64 s[14:15], 1
	s_mov_b64 s[16:17], 3
	;; [unrolled: 1-line block ×4, first 2 shown]
.LBB10_5:                               ; =>This Inner Loop Header: Depth=1
	global_load_b32 v3, v[0:1], off
	s_mov_b32 s2, s15
	s_and_b64 s[0:1], s[14:15], s[8:9]
	s_mov_b32 s28, s16
	s_mov_b32 s29, s3
	;; [unrolled: 1-line block ×4, first 2 shown]
	s_mul_u64 s[54:55], s[2:3], s[6:7]
	s_mul_u64 s[56:57], s[0:1], s[6:7]
	;; [unrolled: 1-line block ×3, first 2 shown]
	s_mov_b32 s2, s17
	s_mul_u64 s[60:61], s[28:29], s[6:7]
	s_mov_b32 s23, s3
	s_mov_b32 s31, s3
	;; [unrolled: 1-line block ×4, first 2 shown]
	s_mul_u64 s[62:63], s[38:39], s[6:7]
	s_mov_b32 s22, s57
	s_mul_u64 s[56:57], s[2:3], s[6:7]
	s_mov_b32 s30, s61
	;; [unrolled: 2-line block ×3, first 2 shown]
	s_mov_b32 s41, s3
	s_mul_u64 s[64:65], s[46:47], s[6:7]
	s_mov_b32 s40, s63
	s_add_nc_u64 s[22:23], s[54:55], s[22:23]
	s_add_nc_u64 s[30:31], s[56:57], s[30:31]
	s_mul_u64 s[54:55], s[2:3], s[6:7]
	s_mul_u64 s[56:57], s[2:3], s[10:11]
	s_mov_b32 s2, s21
	s_mov_b32 s49, s3
	s_mul_u64 s[0:1], s[0:1], s[10:11]
	s_mul_u64 s[28:29], s[28:29], s[10:11]
	s_mov_b32 s48, s65
	s_mov_b32 s24, s23
	;; [unrolled: 1-line block ×5, first 2 shown]
	s_add_nc_u64 s[40:41], s[54:55], s[40:41]
	s_mul_u64 s[54:55], s[2:3], s[6:7]
	s_mul_u64 s[38:39], s[38:39], s[10:11]
	s_add_nc_u64 s[0:1], s[0:1], s[22:23]
	s_add_nc_u64 s[22:23], s[28:29], s[30:31]
	s_mov_b32 s42, s41
	s_mov_b32 s41, s3
	s_add_nc_u64 s[28:29], s[54:55], s[48:49]
	s_mov_b32 s25, s3
	s_mov_b32 s27, s3
	;; [unrolled: 1-line block ×4, first 2 shown]
	s_mul_u64 s[46:47], s[46:47], s[10:11]
	s_mov_b32 s26, s1
	s_mov_b32 s36, s23
	s_add_nc_u64 s[0:1], s[38:39], s[40:41]
	s_mov_b32 s50, s29
	s_mov_b32 s29, s3
	;; [unrolled: 1-line block ×4, first 2 shown]
	s_add_nc_u64 s[22:23], s[24:25], s[26:27]
	s_add_nc_u64 s[24:25], s[34:35], s[36:37]
	s_mov_b32 s44, s1
	s_add_nc_u64 s[0:1], s[46:47], s[28:29]
	s_mov_b32 s51, s3
	s_mov_b32 s53, s3
	s_add_nc_u64 s[22:23], s[58:59], s[22:23]
	s_add_nc_u64 s[24:25], s[60:61], s[24:25]
	s_add_nc_u64 s[26:27], s[42:43], s[44:45]
	s_mov_b32 s52, s1
	s_mul_u64 s[62:63], s[2:3], s[10:11]
	s_lshr_b64 s[0:1], s[22:23], 1
	s_lshr_b64 s[22:23], s[24:25], 1
	s_add_nc_u64 s[24:25], s[56:57], s[26:27]
	s_add_nc_u64 s[26:27], s[50:51], s[52:53]
	s_mul_i32 s28, s22, 3
	s_add_nc_u64 s[22:23], s[62:63], s[26:27]
	s_mul_i32 s2, s0, 3
	s_lshr_b64 s[22:23], s[22:23], 1
	s_lshr_b64 s[0:1], s[24:25], 1
	s_mul_i32 s1, s22, 3
	s_mul_i32 s0, s0, 3
	s_sub_co_i32 s1, s20, s1
	s_sub_co_i32 s2, s14, s2
	;; [unrolled: 1-line block ×4, first 2 shown]
	s_cmp_eq_u32 s1, 2
	s_wait_xcnt 0x0
	v_add_nc_u64_e32 v[0:1], 4, v[0:1]
	s_cselect_b32 vcc_lo, -1, 0
	s_cmp_eq_u32 s1, 1
	s_add_nc_u64 s[12:13], s[12:13], -1
	s_cselect_b32 s0, -1, 0
	s_cmp_eq_u32 s1, 0
	s_add_nc_u64 s[14:15], s[14:15], 1
	s_cselect_b32 s1, -1, 0
	s_cmp_eq_u32 s2, 1
	s_add_nc_u64 s[16:17], s[16:17], 1
	s_add_nc_u64 s[18:19], s[18:19], 1
	;; [unrolled: 1-line block ×3, first 2 shown]
	s_wait_loadcnt 0x0
	v_dual_cndmask_b32 v7, v7, v3, s0 :: v_dual_cndmask_b32 v6, v6, v3, s1
	v_cndmask_b32_e32 v8, v8, v3, vcc_lo
	s_cselect_b32 vcc_lo, -1, 0
	s_cmp_eq_u32 s2, 2
	s_delay_alu instid0(VALU_DEP_2)
	v_cndmask_b32_e32 v3, v6, v7, vcc_lo
	s_cselect_b32 vcc_lo, -1, 0
	s_cmp_eq_u32 s22, 1
	s_cselect_b32 s0, -1, 0
	s_cmp_eq_u32 s22, 2
	v_cndmask_b32_e64 v12, v6, v7, s0
	s_cselect_b32 s0, -1, 0
	s_cmp_eq_u32 s24, 1
	v_cndmask_b32_e32 v3, v3, v8, vcc_lo
	s_cselect_b32 vcc_lo, -1, 0
	s_cmp_eq_u32 s24, 2
	v_cndmask_b32_e32 v13, v6, v7, vcc_lo
	s_cselect_b32 vcc_lo, -1, 0
	v_cndmask_b32_e64 v12, v12, v8, s0
	v_fma_f32 v3, v2, v3, 0
	s_cmp_eq_u64 s[12:13], 0
	v_cndmask_b32_e32 v13, v13, v8, vcc_lo
	s_delay_alu instid0(VALU_DEP_1) | instskip(NEXT) | instid1(VALU_DEP_1)
	v_pk_mul_f32 v[12:13], v[10:11], v[12:13]
	v_add_f32_e32 v3, v3, v12
	s_delay_alu instid0(VALU_DEP_1) | instskip(NEXT) | instid1(VALU_DEP_1)
	v_add_f32_e32 v3, v3, v13
	v_add_f32_e32 v3, v9, v3
	global_store_b32 v[4:5], v3, off
	s_wait_xcnt 0x0
	v_add_nc_u64_e32 v[4:5], s[4:5], v[4:5]
	s_cbranch_scc0 .LBB10_5
.LBB10_6:
	s_endpgm
	.section	.rodata,"a",@progbits
	.p2align	6, 0x0
	.amdhsa_kernel _ZL12ssm_conv_f32ILb0ELm128ELm3EEvPKfS1_S1_iiiiPfiiil
		.amdhsa_group_segment_fixed_size 0
		.amdhsa_private_segment_fixed_size 0
		.amdhsa_kernarg_size 72
		.amdhsa_user_sgpr_count 2
		.amdhsa_user_sgpr_dispatch_ptr 0
		.amdhsa_user_sgpr_queue_ptr 0
		.amdhsa_user_sgpr_kernarg_segment_ptr 1
		.amdhsa_user_sgpr_dispatch_id 0
		.amdhsa_user_sgpr_kernarg_preload_length 0
		.amdhsa_user_sgpr_kernarg_preload_offset 0
		.amdhsa_user_sgpr_private_segment_size 0
		.amdhsa_wavefront_size32 1
		.amdhsa_uses_dynamic_stack 0
		.amdhsa_enable_private_segment 0
		.amdhsa_system_sgpr_workgroup_id_x 1
		.amdhsa_system_sgpr_workgroup_id_y 1
		.amdhsa_system_sgpr_workgroup_id_z 0
		.amdhsa_system_sgpr_workgroup_info 0
		.amdhsa_system_vgpr_workitem_id 0
		.amdhsa_next_free_vgpr 14
		.amdhsa_next_free_sgpr 66
		.amdhsa_named_barrier_count 0
		.amdhsa_reserve_vcc 1
		.amdhsa_float_round_mode_32 0
		.amdhsa_float_round_mode_16_64 0
		.amdhsa_float_denorm_mode_32 3
		.amdhsa_float_denorm_mode_16_64 3
		.amdhsa_fp16_overflow 0
		.amdhsa_memory_ordered 1
		.amdhsa_forward_progress 1
		.amdhsa_inst_pref_size 9
		.amdhsa_round_robin_scheduling 0
		.amdhsa_exception_fp_ieee_invalid_op 0
		.amdhsa_exception_fp_denorm_src 0
		.amdhsa_exception_fp_ieee_div_zero 0
		.amdhsa_exception_fp_ieee_overflow 0
		.amdhsa_exception_fp_ieee_underflow 0
		.amdhsa_exception_fp_ieee_inexact 0
		.amdhsa_exception_int_div_zero 0
	.end_amdhsa_kernel
	.section	.text._ZL12ssm_conv_f32ILb0ELm128ELm3EEvPKfS1_S1_iiiiPfiiil,"axG",@progbits,_ZL12ssm_conv_f32ILb0ELm128ELm3EEvPKfS1_S1_iiiiPfiiil,comdat
.Lfunc_end10:
	.size	_ZL12ssm_conv_f32ILb0ELm128ELm3EEvPKfS1_S1_iiiiPfiiil, .Lfunc_end10-_ZL12ssm_conv_f32ILb0ELm128ELm3EEvPKfS1_S1_iiiiPfiiil
                                        ; -- End function
	.set _ZL12ssm_conv_f32ILb0ELm128ELm3EEvPKfS1_S1_iiiiPfiiil.num_vgpr, 14
	.set _ZL12ssm_conv_f32ILb0ELm128ELm3EEvPKfS1_S1_iiiiPfiiil.num_agpr, 0
	.set _ZL12ssm_conv_f32ILb0ELm128ELm3EEvPKfS1_S1_iiiiPfiiil.numbered_sgpr, 66
	.set _ZL12ssm_conv_f32ILb0ELm128ELm3EEvPKfS1_S1_iiiiPfiiil.num_named_barrier, 0
	.set _ZL12ssm_conv_f32ILb0ELm128ELm3EEvPKfS1_S1_iiiiPfiiil.private_seg_size, 0
	.set _ZL12ssm_conv_f32ILb0ELm128ELm3EEvPKfS1_S1_iiiiPfiiil.uses_vcc, 1
	.set _ZL12ssm_conv_f32ILb0ELm128ELm3EEvPKfS1_S1_iiiiPfiiil.uses_flat_scratch, 0
	.set _ZL12ssm_conv_f32ILb0ELm128ELm3EEvPKfS1_S1_iiiiPfiiil.has_dyn_sized_stack, 0
	.set _ZL12ssm_conv_f32ILb0ELm128ELm3EEvPKfS1_S1_iiiiPfiiil.has_recursion, 0
	.set _ZL12ssm_conv_f32ILb0ELm128ELm3EEvPKfS1_S1_iiiiPfiiil.has_indirect_call, 0
	.section	.AMDGPU.csdata,"",@progbits
; Kernel info:
; codeLenInByte = 1136
; TotalNumSgprs: 68
; NumVgprs: 14
; ScratchSize: 0
; MemoryBound: 0
; FloatMode: 240
; IeeeMode: 1
; LDSByteSize: 0 bytes/workgroup (compile time only)
; SGPRBlocks: 0
; VGPRBlocks: 0
; NumSGPRsForWavesPerEU: 68
; NumVGPRsForWavesPerEU: 14
; NamedBarCnt: 0
; Occupancy: 16
; WaveLimiterHint : 0
; COMPUTE_PGM_RSRC2:SCRATCH_EN: 0
; COMPUTE_PGM_RSRC2:USER_SGPR: 2
; COMPUTE_PGM_RSRC2:TRAP_HANDLER: 0
; COMPUTE_PGM_RSRC2:TGID_X_EN: 1
; COMPUTE_PGM_RSRC2:TGID_Y_EN: 1
; COMPUTE_PGM_RSRC2:TGID_Z_EN: 0
; COMPUTE_PGM_RSRC2:TIDIG_COMP_CNT: 0
	.section	.text._ZL23ssm_conv_long_token_f32ILb0ELm128ELm3ELl32EEvPKfS1_S1_iiiiPfiiil,"axG",@progbits,_ZL23ssm_conv_long_token_f32ILb0ELm128ELm3ELl32EEvPKfS1_S1_iiiiPfiiil,comdat
	.globl	_ZL23ssm_conv_long_token_f32ILb0ELm128ELm3ELl32EEvPKfS1_S1_iiiiPfiiil ; -- Begin function _ZL23ssm_conv_long_token_f32ILb0ELm128ELm3ELl32EEvPKfS1_S1_iiiiPfiiil
	.p2align	8
	.type	_ZL23ssm_conv_long_token_f32ILb0ELm128ELm3ELl32EEvPKfS1_S1_iiiiPfiiil,@function
_ZL23ssm_conv_long_token_f32ILb0ELm128ELm3ELl32EEvPKfS1_S1_iiiiPfiiil: ; @_ZL23ssm_conv_long_token_f32ILb0ELm128ELm3ELl32EEvPKfS1_S1_iiiiPfiiil
; %bb.0:
	v_mul_u32_u24_e32 v1, 0x788, v0
	s_bfe_u32 s3, ttmp6, 0x40010
	s_and_b32 s2, ttmp7, 0xffff
	s_add_co_i32 s5, s3, 1
	s_bfe_u32 s4, ttmp6, 0x40004
	v_lshrrev_b32_e32 v3, 16, v1
	s_mul_i32 s5, s2, s5
	s_getreg_b32 s8, hwreg(HW_REG_IB_STS2, 6, 4)
	s_add_co_i32 s9, s4, s5
	s_cmp_eq_u32 s8, 0
	v_mul_lo_u16 v1, v3, 34
	s_clause 0x1
	s_load_b64 s[10:11], s[0:1], 0x0
	s_load_b128 s[4:7], s[0:1], 0x18
	s_cselect_b32 s2, s2, s9
	s_bfe_u32 s12, ttmp6, 0x40014
	s_lshr_b32 s9, ttmp7, 16
	v_sub_nc_u16 v16, v0, v1
	s_add_co_i32 s12, s12, 1
	s_bfe_u32 s14, ttmp6, 0x40008
	s_mul_i32 s12, s9, s12
	s_mov_b32 s3, 0
	v_or_b32_e32 v1, 0x80, v16
	s_add_co_i32 s14, s14, s12
	s_cmp_eq_u32 s8, 0
	v_and_b32_e32 v16, 0xffff, v16
	s_cselect_b32 s9, s9, s14
	v_mul_lo_u16 v2, 0xf1, v1
	s_bfe_u32 s12, ttmp6, 0x4000c
	s_and_b32 s15, ttmp6, 15
	s_add_co_i32 s12, s12, 1
	s_mov_b32 s13, s3
	v_lshrrev_b16 v17, 13, v2
	s_mul_i32 s12, ttmp9, s12
	s_wait_kmcnt 0x0
	s_mov_b32 s18, s4
	s_add_co_i32 s15, s15, s12
	s_cmp_eq_u32 s8, 0
	v_mul_lo_u16 v2, v17, 34
	v_and_b32_e32 v17, 0xffff, v17
	s_cselect_b32 s16, ttmp9, s15
	s_ashr_i32 s8, s5, 2
	s_ashr_i32 s19, s4, 31
	v_sub_nc_u16 v1, v1, v2
	s_mul_i32 s4, s6, s16
	s_mov_b32 s14, s5
	s_lshl_b32 s2, s2, 7
	s_ashr_i32 s15, s5, 31
	v_and_b32_e32 v1, 0xff, v1
	s_ashr_i32 s5, s4, 31
	s_lshl_b32 s12, s9, 5
	s_mul_u64 s[14:15], s[2:3], s[14:15]
	s_add_nc_u64 s[4:5], s[10:11], s[4:5]
	v_or_b32_e32 v2, 0x80, v1
	s_mul_u64 s[18:19], s[12:13], s[18:19]
	s_add_nc_u64 s[4:5], s[4:5], s[14:15]
	s_mov_b32 s6, exec_lo
	s_add_nc_u64 s[4:5], s[4:5], s[18:19]
	v_mul_lo_u16 v4, 0xf1, v2
	s_delay_alu instid0(VALU_DEP_1) | instskip(NEXT) | instid1(VALU_DEP_1)
	v_lshrrev_b16 v18, 13, v4
	v_mul_lo_u16 v4, v18, 34
	v_and_b32_e32 v18, 0xffff, v18
	s_delay_alu instid0(VALU_DEP_2) | instskip(NEXT) | instid1(VALU_DEP_1)
	v_sub_nc_u16 v2, v2, v4
	v_and_b32_e32 v2, 0xff, v2
	s_delay_alu instid0(VALU_DEP_1) | instskip(NEXT) | instid1(VALU_DEP_1)
	v_or_b32_e32 v4, 0x80, v2
	v_mul_lo_u16 v5, 0xf1, v4
	s_delay_alu instid0(VALU_DEP_1) | instskip(NEXT) | instid1(VALU_DEP_1)
	v_lshrrev_b16 v19, 13, v5
	v_mul_lo_u16 v5, v19, 34
	v_and_b32_e32 v19, 0xffff, v19
	v_add_nc_u32_e32 v17, v3, v17
	s_delay_alu instid0(VALU_DEP_3) | instskip(NEXT) | instid1(VALU_DEP_2)
	v_sub_nc_u16 v4, v4, v5
	v_add_nc_u32_e32 v18, v17, v18
	v_mad_u32 v37, s8, v3, v16
	v_mul_u32_u24_e32 v3, 0x88, v3
	s_delay_alu instid0(VALU_DEP_4) | instskip(NEXT) | instid1(VALU_DEP_4)
	v_and_b32_e32 v4, 0xff, v4
	v_dual_lshlrev_b32 v16, 2, v16 :: v_dual_add_nc_u32 v19, v18, v19
	v_mad_u32 v38, v17, s8, v1
	v_mad_u32 v40, v18, s8, v2
	s_delay_alu instid0(VALU_DEP_4)
	v_or_b32_e32 v5, 0x80, v4
	s_clause 0x1
	global_load_b32 v43, v37, s[4:5] scale_offset
	global_load_b32 v44, v38, s[4:5] scale_offset
	v_mul_lo_u16 v6, 0xf1, v5
	v_mad_u32 v41, v19, s8, v4
	v_dual_lshlrev_b32 v2, 2, v2 :: v_dual_lshlrev_b32 v4, 2, v4
	v_add3_u32 v3, 0, v3, v16
	s_delay_alu instid0(VALU_DEP_4) | instskip(SKIP_1) | instid1(VALU_DEP_2)
	v_lshrrev_b16 v20, 13, v6
	v_lshlrev_b32_e32 v1, 2, v1
	v_mul_lo_u16 v6, v20, 34
	v_and_b32_e32 v20, 0xffff, v20
	s_delay_alu instid0(VALU_DEP_2) | instskip(NEXT) | instid1(VALU_DEP_1)
	v_sub_nc_u16 v5, v5, v6
	v_and_b32_e32 v5, 0xff, v5
	s_delay_alu instid0(VALU_DEP_1) | instskip(NEXT) | instid1(VALU_DEP_1)
	v_or_b32_e32 v6, 0x80, v5
	v_mul_lo_u16 v7, 0xf1, v6
	s_delay_alu instid0(VALU_DEP_1) | instskip(NEXT) | instid1(VALU_DEP_1)
	v_lshrrev_b16 v21, 13, v7
	v_mul_lo_u16 v7, v21, 34
	v_and_b32_e32 v21, 0xffff, v21
	s_delay_alu instid0(VALU_DEP_2) | instskip(NEXT) | instid1(VALU_DEP_1)
	v_sub_nc_u16 v6, v6, v7
	v_and_b32_e32 v6, 0xff, v6
	s_delay_alu instid0(VALU_DEP_1) | instskip(NEXT) | instid1(VALU_DEP_1)
	v_or_b32_e32 v7, 0x80, v6
	v_mul_lo_u16 v8, 0xf1, v7
	s_delay_alu instid0(VALU_DEP_1) | instskip(NEXT) | instid1(VALU_DEP_1)
	v_lshrrev_b16 v22, 13, v8
	v_mul_lo_u16 v8, v22, 34
	v_and_b32_e32 v22, 0xffff, v22
	v_add_nc_u32_e32 v20, v19, v20
	s_delay_alu instid0(VALU_DEP_3) | instskip(NEXT) | instid1(VALU_DEP_1)
	v_sub_nc_u16 v7, v7, v8
	v_and_b32_e32 v7, 0xff, v7
	s_delay_alu instid0(VALU_DEP_1) | instskip(NEXT) | instid1(VALU_DEP_1)
	v_or_b32_e32 v8, 0x80, v7
	v_mul_lo_u16 v9, 0xf1, v8
	s_delay_alu instid0(VALU_DEP_1) | instskip(NEXT) | instid1(VALU_DEP_1)
	v_lshrrev_b16 v23, 13, v9
	v_mul_lo_u16 v9, v23, 34
	v_and_b32_e32 v23, 0xffff, v23
	v_add_nc_u32_e32 v21, v20, v21
	s_delay_alu instid0(VALU_DEP_3) | instskip(NEXT) | instid1(VALU_DEP_2)
	v_sub_nc_u16 v8, v8, v9
	v_add_nc_u32_e32 v22, v21, v22
	s_delay_alu instid0(VALU_DEP_2) | instskip(NEXT) | instid1(VALU_DEP_2)
	v_and_b32_e32 v8, 0xff, v8
	v_add_nc_u32_e32 v23, v22, v23
	v_mad_u32 v42, v21, s8, v6
	v_lshlrev_b32_e32 v6, 2, v6
	s_delay_alu instid0(VALU_DEP_4) | instskip(NEXT) | instid1(VALU_DEP_1)
	v_or_b32_e32 v9, 0x80, v8
	v_mul_lo_u16 v10, 0xf1, v9
	s_delay_alu instid0(VALU_DEP_1) | instskip(NEXT) | instid1(VALU_DEP_1)
	v_lshrrev_b16 v24, 13, v10
	v_mul_lo_u16 v10, v24, 34
	v_and_b32_e32 v24, 0xffff, v24
	s_delay_alu instid0(VALU_DEP_2) | instskip(NEXT) | instid1(VALU_DEP_1)
	v_sub_nc_u16 v9, v9, v10
	v_and_b32_e32 v9, 0xff, v9
	s_delay_alu instid0(VALU_DEP_1) | instskip(NEXT) | instid1(VALU_DEP_1)
	v_or_b32_e32 v10, 0x80, v9
	v_mul_lo_u16 v11, 0xf1, v10
	s_delay_alu instid0(VALU_DEP_1) | instskip(NEXT) | instid1(VALU_DEP_1)
	v_lshrrev_b16 v25, 13, v11
	v_mul_lo_u16 v11, v25, 34
	v_and_b32_e32 v25, 0xffff, v25
	s_delay_alu instid0(VALU_DEP_2) | instskip(NEXT) | instid1(VALU_DEP_1)
	v_sub_nc_u16 v10, v10, v11
	v_and_b32_e32 v10, 0xff, v10
	s_delay_alu instid0(VALU_DEP_1) | instskip(NEXT) | instid1(VALU_DEP_1)
	v_or_b32_e32 v11, 0x80, v10
	v_mul_lo_u16 v12, 0xf1, v11
	s_delay_alu instid0(VALU_DEP_1) | instskip(NEXT) | instid1(VALU_DEP_1)
	v_lshrrev_b16 v26, 13, v12
	v_mul_lo_u16 v12, v26, 34
	v_and_b32_e32 v26, 0xffff, v26
	v_add_nc_u32_e32 v24, v23, v24
	s_delay_alu instid0(VALU_DEP_3) | instskip(NEXT) | instid1(VALU_DEP_1)
	v_sub_nc_u16 v11, v11, v12
	v_and_b32_e32 v11, 0xff, v11
	s_delay_alu instid0(VALU_DEP_1) | instskip(NEXT) | instid1(VALU_DEP_1)
	v_or_b32_e32 v12, 0x80, v11
	v_mul_lo_u16 v13, 0xf1, v12
	s_delay_alu instid0(VALU_DEP_1) | instskip(NEXT) | instid1(VALU_DEP_1)
	v_lshrrev_b16 v27, 13, v13
	v_mul_lo_u16 v13, v27, 34
	v_and_b32_e32 v27, 0xffff, v27
	v_add_nc_u32_e32 v25, v24, v25
	s_delay_alu instid0(VALU_DEP_3) | instskip(NEXT) | instid1(VALU_DEP_2)
	v_sub_nc_u16 v12, v12, v13
	v_add_nc_u32_e32 v26, v25, v26
	s_delay_alu instid0(VALU_DEP_2) | instskip(NEXT) | instid1(VALU_DEP_2)
	v_and_b32_e32 v12, 0xff, v12
	v_add_nc_u32_e32 v27, v26, v27
	v_mad_u32 v48, v25, s8, v10
	v_mad_u32 v49, v26, s8, v11
	s_delay_alu instid0(VALU_DEP_4) | instskip(NEXT) | instid1(VALU_DEP_4)
	v_or_b32_e32 v13, 0x80, v12
	v_mad_u32 v51, v27, s8, v12
	s_delay_alu instid0(VALU_DEP_2) | instskip(NEXT) | instid1(VALU_DEP_1)
	v_mul_lo_u16 v14, 0xf1, v13
	v_lshrrev_b16 v28, 13, v14
	s_delay_alu instid0(VALU_DEP_1) | instskip(SKIP_1) | instid1(VALU_DEP_2)
	v_mul_lo_u16 v14, v28, 34
	v_and_b32_e32 v28, 0xffff, v28
	v_sub_nc_u16 v13, v13, v14
	s_delay_alu instid0(VALU_DEP_1) | instskip(NEXT) | instid1(VALU_DEP_1)
	v_and_b32_e32 v13, 0xff, v13
	v_or_b32_e32 v14, 0x80, v13
	s_delay_alu instid0(VALU_DEP_1) | instskip(NEXT) | instid1(VALU_DEP_1)
	v_mul_lo_u16 v15, 0xf1, v14
	v_lshrrev_b16 v29, 13, v15
	s_delay_alu instid0(VALU_DEP_1) | instskip(SKIP_1) | instid1(VALU_DEP_2)
	v_mul_lo_u16 v15, v29, 34
	v_and_b32_e32 v29, 0xffff, v29
	v_sub_nc_u16 v14, v14, v15
	s_delay_alu instid0(VALU_DEP_1) | instskip(NEXT) | instid1(VALU_DEP_1)
	v_and_b32_e32 v14, 0xff, v14
	v_or_b32_e32 v15, 0x80, v14
	s_delay_alu instid0(VALU_DEP_1) | instskip(NEXT) | instid1(VALU_DEP_1)
	v_mul_lo_u16 v30, 0xf1, v15
	v_lshrrev_b16 v30, 13, v30
	s_delay_alu instid0(VALU_DEP_1) | instskip(SKIP_2) | instid1(VALU_DEP_3)
	v_mul_lo_u16 v31, v30, 34
	v_and_b32_e32 v30, 0xffff, v30
	v_add_nc_u32_e32 v28, v27, v28
	v_sub_nc_u16 v15, v15, v31
	s_delay_alu instid0(VALU_DEP_1) | instskip(NEXT) | instid1(VALU_DEP_1)
	v_and_b32_e32 v15, 0xff, v15
	v_or_b32_e32 v31, 0x80, v15
	s_delay_alu instid0(VALU_DEP_1) | instskip(NEXT) | instid1(VALU_DEP_1)
	v_mul_lo_u16 v32, 0xf1, v31
	v_lshrrev_b16 v32, 13, v32
	s_delay_alu instid0(VALU_DEP_1) | instskip(SKIP_2) | instid1(VALU_DEP_3)
	v_mul_lo_u16 v33, v32, 34
	v_and_b32_e32 v32, 0xffff, v32
	v_add_nc_u32_e32 v29, v28, v29
	v_sub_nc_u16 v31, v31, v33
	s_delay_alu instid0(VALU_DEP_2) | instskip(NEXT) | instid1(VALU_DEP_2)
	v_add_nc_u32_e32 v30, v29, v30
	v_and_b32_e32 v31, 0xff, v31
	s_delay_alu instid0(VALU_DEP_2) | instskip(NEXT) | instid1(VALU_DEP_2)
	v_add_nc_u32_e32 v32, v30, v32
	v_or_b32_e32 v33, 0x80, v31
	s_delay_alu instid0(VALU_DEP_2) | instskip(NEXT) | instid1(VALU_DEP_2)
	v_mad_u32 v56, v32, s8, v31
	v_mul_lo_u16 v34, 0xf1, v33
	s_delay_alu instid0(VALU_DEP_1) | instskip(NEXT) | instid1(VALU_DEP_1)
	v_lshrrev_b16 v34, 13, v34
	v_mul_lo_u16 v35, v34, 34
	v_and_b32_e32 v34, 0xffff, v34
	s_delay_alu instid0(VALU_DEP_2) | instskip(NEXT) | instid1(VALU_DEP_2)
	v_sub_nc_u16 v33, v33, v35
	v_add_nc_u32_e32 v34, v32, v34
	s_delay_alu instid0(VALU_DEP_2) | instskip(NEXT) | instid1(VALU_DEP_1)
	v_and_b32_e32 v33, 0xff, v33
	v_or_b32_e32 v35, 0x80, v33
	s_delay_alu instid0(VALU_DEP_3) | instskip(NEXT) | instid1(VALU_DEP_2)
	v_mad_u32 v16, v34, s8, v33
	v_mul_lo_u16 v36, 0xf1, v35
	s_delay_alu instid0(VALU_DEP_1) | instskip(NEXT) | instid1(VALU_DEP_1)
	v_lshrrev_b16 v36, 13, v36
	v_mul_lo_u16 v39, v36, 34
	v_and_b32_e32 v36, 0xffff, v36
	s_delay_alu instid0(VALU_DEP_2)
	v_sub_nc_u16 v35, v35, v39
	v_mad_u32 v39, v20, s8, v5
	s_clause 0x3
	global_load_b32 v38, v40, s[4:5] scale_offset
	global_load_b32 v45, v41, s[4:5] scale_offset
	;; [unrolled: 1-line block ×4, first 2 shown]
	v_and_b32_e32 v35, 0xff, v35
	s_wait_xcnt 0x3
	v_mad_u32 v40, v22, s8, v7
	s_wait_xcnt 0x2
	v_mad_u32 v41, v23, s8, v8
	;; [unrolled: 2-line block ×3, first 2 shown]
	v_lshlrev_b32_e32 v5, 2, v5
	v_or_b32_e32 v37, 0x80, v35
	s_delay_alu instid0(VALU_DEP_1) | instskip(NEXT) | instid1(VALU_DEP_1)
	v_mul_lo_u16 v39, 0xf1, v37
	v_lshrrev_b16 v39, 13, v39
	s_delay_alu instid0(VALU_DEP_1) | instskip(SKIP_1) | instid1(VALU_DEP_2)
	v_mul_lo_u16 v50, v39, 34
	v_and_b32_e32 v39, 0xffff, v39
	v_sub_nc_u16 v37, v37, v50
	s_clause 0x5
	global_load_b32 v50, v40, s[4:5] scale_offset
	global_load_b32 v52, v41, s[4:5] scale_offset
	;; [unrolled: 1-line block ×6, first 2 shown]
	s_wait_xcnt 0x3
	v_mad_u32 v42, v28, s8, v13
	s_wait_xcnt 0x1
	v_mad_u32 v49, v29, s8, v14
	v_and_b32_e32 v37, 0xff, v37
	s_wait_xcnt 0x0
	v_mad_u32 v51, v30, s8, v15
	s_clause 0x3
	global_load_b32 v58, v42, s[4:5] scale_offset
	global_load_b32 v59, v49, s[4:5] scale_offset
	;; [unrolled: 1-line block ×4, first 2 shown]
	v_or_b32_e32 v48, 0x80, v37
	s_delay_alu instid0(VALU_DEP_1) | instskip(NEXT) | instid1(VALU_DEP_1)
	v_mul_lo_u16 v55, 0xf1, v48
	v_lshrrev_b16 v55, 13, v55
	s_delay_alu instid0(VALU_DEP_1) | instskip(SKIP_3) | instid1(VALU_DEP_3)
	v_mul_lo_u16 v57, v55, 34
	s_wait_xcnt 0x3
	v_and_b32_e32 v42, 0xffff, v55
	v_add_nc_u32_e32 v36, v34, v36
	v_sub_nc_u16 v48, v48, v57
	s_delay_alu instid0(VALU_DEP_2) | instskip(NEXT) | instid1(VALU_DEP_2)
	v_add_nc_u32_e32 v39, v36, v39
	v_and_b32_e32 v48, 0xff, v48
	s_delay_alu instid0(VALU_DEP_2)
	v_add_nc_u32_e32 v42, v39, v42
	s_wait_xcnt 0x2
	v_mad_u32 v49, v36, s8, v35
	s_wait_xcnt 0x1
	v_mad_u32 v51, v39, s8, v37
	v_mad_u32 v55, v42, s8, v48
	s_clause 0x3
	global_load_b32 v56, v16, s[4:5] scale_offset
	global_load_b32 v57, v49, s[4:5] scale_offset
	;; [unrolled: 1-line block ×4, first 2 shown]
	s_wait_xcnt 0x3
	v_mul_u32_u24_e32 v16, 0x88, v17
	s_wait_loadcnt 0x13
	ds_store_b32 v3, v43
	v_mul_u32_u24_e32 v3, 0x88, v19
	v_add3_u32 v1, 0, v16, v1
	v_mul_u32_u24_e32 v16, 0x88, v18
	s_delay_alu instid0(VALU_DEP_3)
	v_add3_u32 v3, 0, v3, v4
	v_mul_u32_u24_e32 v4, 0x88, v21
	s_wait_loadcnt 0x12
	ds_store_b32 v1, v44
	v_add3_u32 v1, 0, v16, v2
	v_mul_u32_u24_e32 v2, 0x88, v20
	s_wait_loadcnt 0x11
	ds_store_b32 v1, v38
	v_add3_u32 v1, 0, v2, v5
	v_mul_lo_u32 v2, 0x88, v22
	s_wait_loadcnt 0x10
	ds_store_b32 v3, v45
	v_add3_u32 v3, 0, v4, v6
	v_mul_lo_u32 v4, 0x88, v23
	v_mul_lo_u32 v5, 0x88, v24
	;; [unrolled: 1-line block ×3, first 2 shown]
	s_wait_loadcnt 0xf
	ds_store_b32 v1, v46
	v_lshlrev_b32_e32 v1, 2, v7
	s_wait_loadcnt 0xe
	ds_store_b32 v3, v47
	v_dual_lshlrev_b32 v3, 2, v8 :: v_dual_lshlrev_b32 v7, 2, v9
	v_mul_lo_u32 v8, 0x88, v26
	v_add3_u32 v1, 0, v2, v1
	v_lshlrev_b32_e32 v2, 2, v10
	s_delay_alu instid0(VALU_DEP_4)
	v_add3_u32 v3, 0, v4, v3
	v_add3_u32 v4, 0, v5, v7
	v_mul_lo_u32 v5, 0x88, v27
	v_dual_lshlrev_b32 v9, 2, v37 :: v_dual_lshlrev_b32 v7, 2, v14
	v_lshlrev_b32_e32 v10, 2, v48
	s_wait_loadcnt 0xd
	ds_store_b32 v1, v50
	v_add3_u32 v1, 0, v6, v2
	v_lshlrev_b32_e32 v2, 2, v11
	s_wait_loadcnt 0xc
	ds_store_b32 v3, v52
	s_wait_loadcnt 0xb
	ds_store_b32 v4, v40
	v_lshlrev_b32_e32 v3, 2, v12
	v_mul_lo_u32 v4, 0x88, v29
	s_wait_loadcnt 0xa
	ds_store_b32 v1, v41
	v_add3_u32 v1, 0, v8, v2
	v_mul_lo_u32 v2, 0x88, v28
	v_add3_u32 v3, 0, v5, v3
	v_mul_lo_u32 v5, 0x88, v30
	v_mul_lo_u32 v6, 0x88, v32
	s_wait_loadcnt 0x9
	ds_store_b32 v1, v53
	v_lshlrev_b32_e32 v1, 2, v13
	s_wait_loadcnt 0x8
	ds_store_b32 v3, v54
	v_lshlrev_b32_e32 v3, 2, v15
	v_lshlrev_b32_e32 v8, 2, v31
	v_add3_u32 v1, 0, v2, v1
	v_add3_u32 v2, 0, v4, v7
	v_or_b32_e32 v4, 0x80, v48
	v_add3_u32 v3, 0, v5, v3
	v_add3_u32 v5, 0, v6, v8
	v_mul_lo_u32 v6, 0x88, v34
	s_wait_loadcnt 0x7
	ds_store_b32 v1, v58
	v_mul_lo_u16 v1, 0xf1, v4
	s_wait_loadcnt 0x6
	ds_store_b32 v2, v59
	s_wait_loadcnt 0x5
	ds_store_b32 v3, v60
	;; [unrolled: 2-line block ×3, first 2 shown]
	v_lshlrev_b32_e32 v2, 2, v33
	v_mul_lo_u32 v3, 0x88, v36
	v_mul_lo_u32 v5, 0x88, v39
	v_lshrrev_b16 v1, 13, v1
	v_mul_lo_u32 v7, 0x88, v42
	v_lshlrev_b32_e32 v8, 2, v35
	v_add3_u32 v6, 0, v6, v2
	s_delay_alu instid0(VALU_DEP_4) | instskip(SKIP_1) | instid1(VALU_DEP_4)
	v_mul_lo_u16 v2, v1, 34
	v_and_b32_e32 v1, 0xffff, v1
	v_add3_u32 v3, 0, v3, v8
	s_delay_alu instid0(VALU_DEP_3) | instskip(NEXT) | instid1(VALU_DEP_3)
	v_sub_nc_u16 v2, v4, v2
	v_add_nc_u32_e32 v1, v42, v1
	v_add3_u32 v4, 0, v5, v9
	v_add3_u32 v5, 0, v7, v10
	s_wait_loadcnt 0x3
	ds_store_b32 v6, v56
	s_wait_loadcnt 0x2
	ds_store_b32 v3, v57
	;; [unrolled: 2-line block ×4, first 2 shown]
	v_and_b32_e32 v2, 0xff, v2
	v_cmpx_gt_u32_e32 0x80, v1
	s_cbranch_execz .LBB11_2
; %bb.1:
	s_delay_alu instid0(VALU_DEP_2)
	v_mad_u32 v3, v1, s8, v2
	v_mul_lo_u32 v4, 0x88, v1
	v_lshlrev_b32_e32 v5, 2, v2
	global_load_b32 v3, v3, s[4:5] scale_offset
	v_add3_u32 v4, 0, v4, v5
	s_wait_loadcnt 0x0
	ds_store_b32 v4, v3
.LBB11_2:
	s_or_b32 exec_lo, exec_lo, s6
	s_delay_alu instid0(VALU_DEP_2) | instskip(SKIP_1) | instid1(VALU_DEP_1)
	v_or_b32_e32 v2, 0x80, v2
	s_mov_b32 s6, exec_lo
	v_mul_lo_u16 v3, 0xf1, v2
	s_delay_alu instid0(VALU_DEP_1) | instskip(NEXT) | instid1(VALU_DEP_1)
	v_lshrrev_b16 v3, 13, v3
	v_mul_lo_u16 v4, v3, 34
	v_and_b32_e32 v3, 0xffff, v3
	s_delay_alu instid0(VALU_DEP_2) | instskip(NEXT) | instid1(VALU_DEP_2)
	v_sub_nc_u16 v2, v2, v4
	v_add_nc_u32_e32 v1, v1, v3
	s_delay_alu instid0(VALU_DEP_2) | instskip(NEXT) | instid1(VALU_DEP_2)
	v_and_b32_e32 v2, 0xff, v2
	v_cmpx_gt_u32_e32 0x80, v1
	s_cbranch_execz .LBB11_4
; %bb.3:
	s_delay_alu instid0(VALU_DEP_2)
	v_mad_u32 v3, v1, s8, v2
	v_mul_lo_u32 v4, 0x88, v1
	v_lshlrev_b32_e32 v5, 2, v2
	global_load_b32 v3, v3, s[4:5] scale_offset
	v_add3_u32 v4, 0, v4, v5
	s_wait_loadcnt 0x0
	ds_store_b32 v4, v3
.LBB11_4:
	s_or_b32 exec_lo, exec_lo, s6
	s_delay_alu instid0(VALU_DEP_2) | instskip(SKIP_1) | instid1(VALU_DEP_1)
	v_or_b32_e32 v2, 0x80, v2
	s_mov_b32 s6, exec_lo
	v_mul_lo_u16 v3, 0xf1, v2
	s_delay_alu instid0(VALU_DEP_1) | instskip(NEXT) | instid1(VALU_DEP_1)
	v_lshrrev_b16 v3, 13, v3
	v_mul_lo_u16 v4, v3, 34
	v_and_b32_e32 v3, 0xffff, v3
	s_delay_alu instid0(VALU_DEP_2) | instskip(NEXT) | instid1(VALU_DEP_2)
	v_sub_nc_u16 v2, v2, v4
	v_add_nc_u32_e32 v1, v1, v3
	s_delay_alu instid0(VALU_DEP_2) | instskip(NEXT) | instid1(VALU_DEP_2)
	;; [unrolled: 26-line block ×6, first 2 shown]
	v_and_b32_e32 v2, 0xff, v2
	v_cmpx_gt_u32_e32 0x80, v1
	s_cbranch_execz .LBB11_14
; %bb.13:
	s_delay_alu instid0(VALU_DEP_2)
	v_mad_u32 v3, v1, s8, v2
	v_mul_lo_u32 v4, 0x88, v1
	v_lshlrev_b32_e32 v5, 2, v2
	global_load_b32 v3, v3, s[4:5] scale_offset
	v_add3_u32 v4, 0, v4, v5
	s_wait_loadcnt 0x0
	ds_store_b32 v4, v3
.LBB11_14:
	s_or_b32 exec_lo, exec_lo, s6
	s_delay_alu instid0(SALU_CYCLE_1)
	s_mov_b32 s6, exec_lo
	v_cmpx_gt_u32_e32 0x380, v0
	s_cbranch_execz .LBB11_35
; %bb.15:
	v_or_b32_e32 v2, 0x80, v2
	s_mov_b32 s9, exec_lo
	s_delay_alu instid0(VALU_DEP_1) | instskip(NEXT) | instid1(VALU_DEP_1)
	v_mul_lo_u16 v3, 0xf1, v2
	v_lshrrev_b16 v3, 13, v3
	s_delay_alu instid0(VALU_DEP_1) | instskip(SKIP_1) | instid1(VALU_DEP_2)
	v_mul_lo_u16 v4, v3, 34
	v_and_b32_e32 v3, 0xffff, v3
	v_sub_nc_u16 v2, v2, v4
	s_delay_alu instid0(VALU_DEP_2) | instskip(NEXT) | instid1(VALU_DEP_2)
	v_add_nc_u32_e32 v1, v1, v3
	v_and_b32_e32 v2, 0xff, v2
	s_delay_alu instid0(VALU_DEP_2)
	v_cmpx_gt_u32_e32 0x80, v1
	s_cbranch_execz .LBB11_17
; %bb.16:
	s_delay_alu instid0(VALU_DEP_2)
	v_mad_u32 v3, v1, s8, v2
	v_mul_lo_u32 v4, 0x88, v1
	v_lshlrev_b32_e32 v5, 2, v2
	global_load_b32 v3, v3, s[4:5] scale_offset
	v_add3_u32 v4, 0, v4, v5
	s_wait_loadcnt 0x0
	ds_store_b32 v4, v3
.LBB11_17:
	s_or_b32 exec_lo, exec_lo, s9
	v_cmp_gt_u32_e32 vcc_lo, 0x300, v0
	s_and_b32 exec_lo, exec_lo, vcc_lo
	s_cbranch_execz .LBB11_35
; %bb.18:
	v_or_b32_e32 v2, 0x80, v2
	s_mov_b32 s9, exec_lo
	s_delay_alu instid0(VALU_DEP_1) | instskip(NEXT) | instid1(VALU_DEP_1)
	v_mul_lo_u16 v3, 0xf1, v2
	v_lshrrev_b16 v3, 13, v3
	s_delay_alu instid0(VALU_DEP_1) | instskip(SKIP_1) | instid1(VALU_DEP_2)
	v_mul_lo_u16 v4, v3, 34
	v_and_b32_e32 v3, 0xffff, v3
	v_sub_nc_u16 v2, v2, v4
	s_delay_alu instid0(VALU_DEP_2) | instskip(NEXT) | instid1(VALU_DEP_2)
	v_add_nc_u32_e32 v1, v1, v3
	v_and_b32_e32 v2, 0xff, v2
	s_delay_alu instid0(VALU_DEP_2)
	v_cmpx_gt_u32_e32 0x80, v1
	s_cbranch_execz .LBB11_20
; %bb.19:
	s_delay_alu instid0(VALU_DEP_2)
	v_mad_u32 v3, v1, s8, v2
	v_mul_lo_u32 v4, 0x88, v1
	v_lshlrev_b32_e32 v5, 2, v2
	global_load_b32 v3, v3, s[4:5] scale_offset
	v_add3_u32 v4, 0, v4, v5
	s_wait_loadcnt 0x0
	ds_store_b32 v4, v3
.LBB11_20:
	s_or_b32 exec_lo, exec_lo, s9
	v_cmp_gt_u32_e32 vcc_lo, 0x280, v0
	s_and_b32 exec_lo, exec_lo, vcc_lo
	;; [unrolled: 30-line block ×6, first 2 shown]
	s_cbranch_execz .LBB11_35
; %bb.33:
	v_or_b32_e32 v2, 0x80, v2
	s_delay_alu instid0(VALU_DEP_1) | instskip(NEXT) | instid1(VALU_DEP_1)
	v_mul_lo_u16 v3, 0xf1, v2
	v_lshrrev_b16 v3, 13, v3
	s_delay_alu instid0(VALU_DEP_1) | instskip(NEXT) | instid1(VALU_DEP_1)
	v_and_b32_e32 v4, 0xffff, v3
	v_add_nc_u32_e32 v1, v1, v4
	s_delay_alu instid0(VALU_DEP_1)
	v_cmp_gt_u32_e32 vcc_lo, 0x80, v1
	s_and_b32 exec_lo, exec_lo, vcc_lo
	s_cbranch_execz .LBB11_35
; %bb.34:
	v_mul_lo_u16 v3, v3, 34
	s_delay_alu instid0(VALU_DEP_1) | instskip(NEXT) | instid1(VALU_DEP_1)
	v_sub_nc_u16 v2, v2, v3
	v_and_b32_e32 v2, 0xff, v2
	s_delay_alu instid0(VALU_DEP_1)
	v_mad_u32 v3, v1, s8, v2
	v_mul_lo_u32 v1, 0x88, v1
	v_lshlrev_b32_e32 v2, 2, v2
	global_load_b32 v3, v3, s[4:5] scale_offset
	v_add3_u32 v1, 0, v1, v2
	s_wait_loadcnt 0x0
	ds_store_b32 v1, v3
.LBB11_35:
	s_or_b32 exec_lo, exec_lo, s6
	s_clause 0x1
	s_load_b128 s[8:11], s[0:1], 0x8
	s_load_b64 s[14:15], s[0:1], 0x28
	s_ashr_i32 s4, s7, 2
	s_ashr_i32 s5, s7, 31
	v_mul_lo_u32 v2, s4, v0
	s_mov_b32 s4, s7
	s_wait_dscnt 0x0
	s_mul_u64 s[4:5], s[2:3], s[4:5]
	s_barrier_signal -1
	s_barrier_wait -1
	s_delay_alu instid0(VALU_DEP_1) | instskip(SKIP_3) | instid1(VALU_DEP_1)
	v_ashrrev_i32_e32 v3, 31, v2
	s_wait_kmcnt 0x0
	s_add_nc_u64 s[4:5], s[8:9], s[4:5]
	s_cmp_eq_u64 s[10:11], 0
	v_lshl_add_u64 v[2:3], v[2:3], 2, s[4:5]
	global_load_b96 v[2:4], v[2:3], off
	s_cbranch_scc1 .LBB11_37
; %bb.36:
	s_lshl_b64 s[4:5], s[2:3], 2
	s_delay_alu instid0(SALU_CYCLE_1)
	s_add_nc_u64 s[4:5], s[10:11], s[4:5]
	global_load_b32 v6, v0, s[4:5] scale_offset
	s_branch .LBB11_38
.LBB11_37:
	v_mov_b32_e32 v6, 0
.LBB11_38:
	s_wait_xcnt 0x0
	s_load_b64 s[4:5], s[0:1], 0x40
	s_wait_kmcnt 0x0
	s_sub_nc_u64 s[4:5], s[4:5], s[12:13]
	s_delay_alu instid0(SALU_CYCLE_1)
	v_cmp_lt_i64_e64 s6, s[4:5], 1
	s_and_b32 vcc_lo, exec_lo, s6
	s_cbranch_vccnz .LBB11_46
; %bb.39:
	v_min_u64 v[10:11], s[4:5], 32
	s_load_b96 s[8:10], s[0:1], 0x30
	s_wait_loadcnt 0x0
	v_dual_mov_b32 v8, v3 :: v_dual_mov_b32 v9, v4
	v_mul_u32_u24_e32 v18, 0x88, v0
	v_dual_mov_b32 v1, 0 :: v_dual_lshlrev_b32 v0, 2, v0
	s_wait_kmcnt 0x0
	s_mul_i32 s10, s10, s16
	s_ashr_i32 s7, s9, 31
	s_ashr_i32 s17, s8, 31
	s_ashr_i32 s0, s9, 2
	s_ashr_i32 s11, s10, 31
	s_cmp_eq_u64 s[4:5], 1
	s_mov_b32 s6, s9
	s_cselect_b32 s1, -1, 0
	s_cmp_lg_u32 s0, 1
	s_mov_b32 s16, s8
	s_cselect_b32 s8, -1, 0
	s_mul_u64 s[4:5], s[12:13], s[6:7]
	s_mul_u64 s[6:7], s[2:3], s[16:17]
	s_delay_alu instid0(VALU_DEP_4)
	v_readfirstlane_b32 s2, v10
	v_readfirstlane_b32 s3, v11
	s_or_b32 s1, s1, s8
	s_add_nc_u64 s[8:9], s[14:15], s[10:11]
	s_and_b32 vcc_lo, exec_lo, s1
	s_cbranch_vccnz .LBB11_43
; %bb.40:
	v_dual_mov_b32 v14, v2 :: v_dual_add_nc_u32 v19, 0, v18
	s_add_nc_u64 s[10:11], s[8:9], s[4:5]
	v_dual_mov_b32 v15, v2 :: v_dual_mov_b32 v16, v8
	ds_load_2addr_b32 v[10:11], v19 offset1:1
	s_add_nc_u64 s[10:11], s[10:11], s[6:7]
	v_dual_mov_b32 v17, v3 :: v_dual_mov_b32 v5, v9
	v_add_nc_u64_e32 v[12:13], s[10:11], v[0:1]
	v_mov_b32_e32 v7, v6
	s_and_b64 s[10:11], s[2:3], 62
	s_delay_alu instid0(SALU_CYCLE_1)
	s_mov_b64 s[12:13], s[10:11]
.LBB11_41:                              ; =>This Inner Loop Header: Depth=1
	ds_load_2addr_b32 v[20:21], v19 offset0:1 offset1:2
	s_wait_dscnt 0x1
	v_pk_fma_f32 v[22:23], v[14:15], v[10:11], 0 op_sel_hi:[1,1,0]
	ds_load_2addr_b32 v[10:11], v19 offset0:2 offset1:3
	v_add_nc_u32_e32 v19, 8, v19
	s_add_nc_u64 s[12:13], s[12:13], -2
	s_delay_alu instid0(SALU_CYCLE_1) | instskip(SKIP_3) | instid1(VALU_DEP_1)
	s_cmp_lg_u64 s[12:13], 0
	s_wait_dscnt 0x1
	v_pk_fma_f32 v[20:21], v[16:17], v[20:21], v[22:23]
	s_wait_dscnt 0x0
	v_pk_fma_f32 v[20:21], v[4:5], v[10:11], v[20:21]
	s_delay_alu instid0(VALU_DEP_1)
	v_pk_add_f32 v[20:21], v[6:7], v[20:21]
	global_store_b64 v[12:13], v[20:21], off
	s_wait_xcnt 0x0
	v_add_nc_u64_e32 v[12:13], 8, v[12:13]
	s_cbranch_scc1 .LBB11_41
; %bb.42:
	s_cmp_lg_u64 s[2:3], s[10:11]
	s_cselect_b32 s1, -1, 0
	s_delay_alu instid0(SALU_CYCLE_1)
	s_and_b32 vcc_lo, exec_lo, s1
	s_cbranch_vccnz .LBB11_44
	s_branch .LBB11_46
.LBB11_43:
	s_mov_b64 s[10:11], 0
	s_cbranch_execz .LBB11_46
.LBB11_44:
	s_lshl_b32 s1, s10, 2
	s_add_nc_u64 s[4:5], s[6:7], s[4:5]
	v_add3_u32 v3, 0, s1, v18
	s_ashr_i32 s1, s0, 31
	v_mov_b32_e32 v1, 0
	s_mul_u64 s[12:13], s[10:11], s[0:1]
	s_sub_nc_u64 s[2:3], s[2:3], s[10:11]
	ds_load_b32 v4, v3
	s_lshl_b64 s[6:7], s[12:13], 2
	s_lshl_b64 s[0:1], s[0:1], 2
	s_add_nc_u64 s[4:5], s[4:5], s[6:7]
	s_delay_alu instid0(SALU_CYCLE_1) | instskip(NEXT) | instid1(SALU_CYCLE_1)
	s_add_nc_u64 s[4:5], s[8:9], s[4:5]
	v_add_nc_u64_e32 v[0:1], s[4:5], v[0:1]
.LBB11_45:                              ; =>This Inner Loop Header: Depth=1
	s_wait_dscnt 0x0
	v_fma_f32 v7, v2, v4, 0
	ds_load_2addr_b32 v[4:5], v3 offset0:1 offset1:2
	s_add_nc_u64 s[2:3], s[2:3], -1
	v_add_nc_u32_e32 v3, 4, v3
	s_cmp_lg_u64 s[2:3], 0
	s_wait_dscnt 0x0
	v_pk_mul_f32 v[10:11], v[8:9], v[4:5]
	s_delay_alu instid0(VALU_DEP_1) | instskip(NEXT) | instid1(VALU_DEP_1)
	v_add_f32_e32 v5, v7, v10
	v_add_f32_e32 v5, v5, v11
	s_delay_alu instid0(VALU_DEP_1)
	v_add_f32_e32 v5, v6, v5
	global_store_b32 v[0:1], v5, off
	s_wait_xcnt 0x0
	v_add_nc_u64_e32 v[0:1], s[0:1], v[0:1]
	s_cbranch_scc1 .LBB11_45
.LBB11_46:
	s_endpgm
	.section	.rodata,"a",@progbits
	.p2align	6, 0x0
	.amdhsa_kernel _ZL23ssm_conv_long_token_f32ILb0ELm128ELm3ELl32EEvPKfS1_S1_iiiiPfiiil
		.amdhsa_group_segment_fixed_size 0
		.amdhsa_private_segment_fixed_size 0
		.amdhsa_kernarg_size 72
		.amdhsa_user_sgpr_count 2
		.amdhsa_user_sgpr_dispatch_ptr 0
		.amdhsa_user_sgpr_queue_ptr 0
		.amdhsa_user_sgpr_kernarg_segment_ptr 1
		.amdhsa_user_sgpr_dispatch_id 0
		.amdhsa_user_sgpr_kernarg_preload_length 0
		.amdhsa_user_sgpr_kernarg_preload_offset 0
		.amdhsa_user_sgpr_private_segment_size 0
		.amdhsa_wavefront_size32 1
		.amdhsa_uses_dynamic_stack 0
		.amdhsa_enable_private_segment 0
		.amdhsa_system_sgpr_workgroup_id_x 1
		.amdhsa_system_sgpr_workgroup_id_y 1
		.amdhsa_system_sgpr_workgroup_id_z 1
		.amdhsa_system_sgpr_workgroup_info 0
		.amdhsa_system_vgpr_workitem_id 0
		.amdhsa_next_free_vgpr 64
		.amdhsa_next_free_sgpr 20
		.amdhsa_named_barrier_count 0
		.amdhsa_reserve_vcc 1
		.amdhsa_float_round_mode_32 0
		.amdhsa_float_round_mode_16_64 0
		.amdhsa_float_denorm_mode_32 3
		.amdhsa_float_denorm_mode_16_64 3
		.amdhsa_fp16_overflow 0
		.amdhsa_memory_ordered 1
		.amdhsa_forward_progress 1
		.amdhsa_inst_pref_size 46
		.amdhsa_round_robin_scheduling 0
		.amdhsa_exception_fp_ieee_invalid_op 0
		.amdhsa_exception_fp_denorm_src 0
		.amdhsa_exception_fp_ieee_div_zero 0
		.amdhsa_exception_fp_ieee_overflow 0
		.amdhsa_exception_fp_ieee_underflow 0
		.amdhsa_exception_fp_ieee_inexact 0
		.amdhsa_exception_int_div_zero 0
	.end_amdhsa_kernel
	.section	.text._ZL23ssm_conv_long_token_f32ILb0ELm128ELm3ELl32EEvPKfS1_S1_iiiiPfiiil,"axG",@progbits,_ZL23ssm_conv_long_token_f32ILb0ELm128ELm3ELl32EEvPKfS1_S1_iiiiPfiiil,comdat
.Lfunc_end11:
	.size	_ZL23ssm_conv_long_token_f32ILb0ELm128ELm3ELl32EEvPKfS1_S1_iiiiPfiiil, .Lfunc_end11-_ZL23ssm_conv_long_token_f32ILb0ELm128ELm3ELl32EEvPKfS1_S1_iiiiPfiiil
                                        ; -- End function
	.set _ZL23ssm_conv_long_token_f32ILb0ELm128ELm3ELl32EEvPKfS1_S1_iiiiPfiiil.num_vgpr, 64
	.set _ZL23ssm_conv_long_token_f32ILb0ELm128ELm3ELl32EEvPKfS1_S1_iiiiPfiiil.num_agpr, 0
	.set _ZL23ssm_conv_long_token_f32ILb0ELm128ELm3ELl32EEvPKfS1_S1_iiiiPfiiil.numbered_sgpr, 20
	.set _ZL23ssm_conv_long_token_f32ILb0ELm128ELm3ELl32EEvPKfS1_S1_iiiiPfiiil.num_named_barrier, 0
	.set _ZL23ssm_conv_long_token_f32ILb0ELm128ELm3ELl32EEvPKfS1_S1_iiiiPfiiil.private_seg_size, 0
	.set _ZL23ssm_conv_long_token_f32ILb0ELm128ELm3ELl32EEvPKfS1_S1_iiiiPfiiil.uses_vcc, 1
	.set _ZL23ssm_conv_long_token_f32ILb0ELm128ELm3ELl32EEvPKfS1_S1_iiiiPfiiil.uses_flat_scratch, 0
	.set _ZL23ssm_conv_long_token_f32ILb0ELm128ELm3ELl32EEvPKfS1_S1_iiiiPfiiil.has_dyn_sized_stack, 0
	.set _ZL23ssm_conv_long_token_f32ILb0ELm128ELm3ELl32EEvPKfS1_S1_iiiiPfiiil.has_recursion, 0
	.set _ZL23ssm_conv_long_token_f32ILb0ELm128ELm3ELl32EEvPKfS1_S1_iiiiPfiiil.has_indirect_call, 0
	.section	.AMDGPU.csdata,"",@progbits
; Kernel info:
; codeLenInByte = 5880
; TotalNumSgprs: 22
; NumVgprs: 64
; ScratchSize: 0
; MemoryBound: 0
; FloatMode: 240
; IeeeMode: 1
; LDSByteSize: 0 bytes/workgroup (compile time only)
; SGPRBlocks: 0
; VGPRBlocks: 3
; NumSGPRsForWavesPerEU: 22
; NumVGPRsForWavesPerEU: 64
; NamedBarCnt: 0
; Occupancy: 16
; WaveLimiterHint : 0
; COMPUTE_PGM_RSRC2:SCRATCH_EN: 0
; COMPUTE_PGM_RSRC2:USER_SGPR: 2
; COMPUTE_PGM_RSRC2:TRAP_HANDLER: 0
; COMPUTE_PGM_RSRC2:TGID_X_EN: 1
; COMPUTE_PGM_RSRC2:TGID_Y_EN: 1
; COMPUTE_PGM_RSRC2:TGID_Z_EN: 1
; COMPUTE_PGM_RSRC2:TIDIG_COMP_CNT: 0
	.section	.text._ZL12ssm_conv_f32ILb0ELm128ELm4EEvPKfS1_S1_iiiiPfiiil,"axG",@progbits,_ZL12ssm_conv_f32ILb0ELm128ELm4EEvPKfS1_S1_iiiiPfiiil,comdat
	.globl	_ZL12ssm_conv_f32ILb0ELm128ELm4EEvPKfS1_S1_iiiiPfiiil ; -- Begin function _ZL12ssm_conv_f32ILb0ELm128ELm4EEvPKfS1_S1_iiiiPfiiil
	.p2align	8
	.type	_ZL12ssm_conv_f32ILb0ELm128ELm4EEvPKfS1_S1_iiiiPfiiil,@function
_ZL12ssm_conv_f32ILb0ELm128ELm4EEvPKfS1_S1_iiiiPfiiil: ; @_ZL12ssm_conv_f32ILb0ELm128ELm4EEvPKfS1_S1_iiiiPfiiil
; %bb.0:
	s_load_b64 s[2:3], s[0:1], 0x10
	s_bfe_u32 s4, ttmp6, 0x40010
	s_bfe_u32 s5, ttmp6, 0x40004
	s_add_co_i32 s4, s4, 1
	s_getreg_b32 s7, hwreg(HW_REG_IB_STS2, 6, 4)
	s_mul_i32 s4, ttmp7, s4
	s_delay_alu instid0(SALU_CYCLE_1) | instskip(SKIP_2) | instid1(SALU_CYCLE_1)
	s_add_co_i32 s5, s5, s4
	s_cmp_eq_u32 s7, 0
	s_cselect_b32 s4, ttmp7, s5
	s_ashr_i32 s5, s4, 31
	s_delay_alu instid0(SALU_CYCLE_1)
	s_lshl_b64 s[8:9], s[4:5], 7
	s_wait_kmcnt 0x0
	s_cmp_eq_u64 s[2:3], 0
	s_cbranch_scc1 .LBB12_2
; %bb.1:
	s_lshl_b64 s[4:5], s[8:9], 2
	s_delay_alu instid0(SALU_CYCLE_1)
	s_add_nc_u64 s[2:3], s[2:3], s[4:5]
	global_load_b32 v12, v0, s[2:3] scale_offset
	s_wait_xcnt 0x0
	s_load_b64 s[2:3], s[0:1], 0x40
	s_wait_kmcnt 0x0
	v_cmp_lt_i64_e64 s4, s[2:3], 1
	s_and_b32 vcc_lo, exec_lo, s4
	s_cbranch_vccz .LBB12_3
	s_branch .LBB12_6
.LBB12_2:
	v_mov_b32_e32 v12, 0
	s_load_b64 s[2:3], s[0:1], 0x40
	s_wait_kmcnt 0x0
	v_cmp_lt_i64_e64 s4, s[2:3], 1
	s_and_b32 vcc_lo, exec_lo, s4
	s_cbranch_vccnz .LBB12_6
.LBB12_3:
	s_clause 0x1
	s_load_b96 s[4:6], s[0:1], 0x1c
	s_load_b128 s[12:15], s[0:1], 0x0
	s_bfe_u32 s10, ttmp6, 0x4000c
	s_and_b32 s11, ttmp6, 15
	s_add_co_i32 s10, s10, 1
	s_delay_alu instid0(SALU_CYCLE_1) | instskip(NEXT) | instid1(SALU_CYCLE_1)
	s_mul_i32 s10, ttmp9, s10
	s_add_co_i32 s10, s11, s10
	s_wait_kmcnt 0x0
	s_ashr_i32 s11, s6, 31
	s_ashr_i32 s16, s6, 2
	s_cmp_eq_u32 s7, 0
	v_mul_lo_u32 v2, s16, v0
	s_cselect_b32 s17, ttmp9, s10
	s_ashr_i32 s7, s4, 2
	s_mov_b32 s10, s6
	v_mul_lo_u32 v4, s7, v0
	s_mul_u64 s[6:7], s[8:9], s[10:11]
	s_mul_i32 s10, s5, s17
	s_ashr_i32 s5, s4, 31
	s_ashr_i32 s11, s10, 31
	s_mul_u64 s[4:5], s[8:9], s[4:5]
	s_add_nc_u64 s[10:11], s[12:13], s[10:11]
	v_ashrrev_i32_e32 v3, 31, v2
	s_add_nc_u64 s[6:7], s[14:15], s[6:7]
	s_add_nc_u64 s[4:5], s[10:11], s[4:5]
	s_delay_alu instid0(VALU_DEP_2) | instskip(NEXT) | instid1(VALU_DEP_2)
	v_ashrrev_i32_e32 v5, 31, v4
	v_lshl_add_u64 v[14:15], v[2:3], 2, s[6:7]
	s_delay_alu instid0(VALU_DEP_2)
	v_lshl_add_u64 v[10:11], v[4:5], 2, s[4:5]
	s_load_b96 s[4:6], s[0:1], 0x30
	global_load_b128 v[2:5], v[14:15], off
	global_load_b128 v[6:9], v[10:11], off
	s_load_b64 s[0:1], s[0:1], 0x28
	s_wait_kmcnt 0x0
	s_mul_i32 s6, s6, s17
	s_ashr_i32 s11, s4, 31
	s_ashr_i32 s7, s6, 31
	s_mov_b32 s10, s4
	s_add_nc_u64 s[0:1], s[0:1], s[6:7]
	s_mul_u64 s[6:7], s[8:9], s[10:11]
	s_cmp_eq_u64 s[2:3], 1
	s_add_nc_u64 s[8:9], s[0:1], s[6:7]
	s_wait_loadcnt 0x0
	v_pk_mul_f32 v[14:15], v[2:3], v[6:7]
	s_delay_alu instid0(VALU_DEP_1) | instskip(NEXT) | instid1(VALU_DEP_1)
	v_add_f32_e32 v1, 0, v14
	v_add_f32_e32 v1, v1, v15
	v_pk_mul_f32 v[14:15], v[4:5], v[8:9]
	s_delay_alu instid0(VALU_DEP_1) | instskip(NEXT) | instid1(VALU_DEP_1)
	v_add_f32_e32 v1, v1, v14
	v_add_f32_e32 v1, v1, v15
	s_delay_alu instid0(VALU_DEP_1)
	v_add_f32_e32 v1, v12, v1
	global_store_b32 v0, v1, s[8:9] scale_offset
	s_cbranch_scc1 .LBB12_6
; %bb.4:
	s_ashr_i32 s4, s5, 2
	v_dual_mov_b32 v15, 0 :: v_dual_lshlrev_b32 v14, 2, v0
	s_ashr_i32 s5, s4, 31
	s_wait_xcnt 0x0
	v_add_nc_u64_e32 v[0:1], 16, v[10:11]
	s_lshl_b64 s[4:5], s[4:5], 2
	s_mov_b64 s[8:9], 0
	s_add_nc_u64 s[6:7], s[6:7], s[4:5]
	s_delay_alu instid0(SALU_CYCLE_1)
	s_add_nc_u64 s[0:1], s[0:1], s[6:7]
	s_add_nc_u64 s[6:7], s[2:3], -1
	v_add_nc_u64_e32 v[10:11], s[0:1], v[14:15]
.LBB12_5:                               ; =>This Inner Loop Header: Depth=1
	global_load_b32 v15, v[0:1], off
	s_add_co_i32 s0, s8, 4
	s_add_nc_u64 s[10:11], s[8:9], 1
	s_and_b32 s2, s0, 3
	s_wait_xcnt 0x0
	v_add_nc_u64_e32 v[0:1], 4, v[0:1]
	s_cmp_eq_u32 s2, 3
	s_cselect_b32 vcc_lo, -1, 0
	s_cmp_eq_u32 s2, 2
	s_cselect_b32 s0, -1, 0
	s_cmp_eq_u32 s2, 1
	s_cselect_b32 s1, -1, 0
	;; [unrolled: 2-line block ×3, first 2 shown]
	s_and_b32 s3, s10, 3
	s_delay_alu instid0(SALU_CYCLE_1)
	s_cmp_eq_u32 s3, 1
	s_wait_loadcnt 0x0
	v_dual_cndmask_b32 v7, v7, v15, s1 :: v_dual_cndmask_b32 v6, v6, v15, s2
	v_dual_cndmask_b32 v9, v9, v15, vcc_lo :: v_dual_cndmask_b32 v8, v8, v15, s0
	s_cselect_b32 vcc_lo, -1, 0
	s_cmp_eq_u32 s3, 2
	s_delay_alu instid0(VALU_DEP_2) | instskip(SKIP_2) | instid1(VALU_DEP_1)
	v_cndmask_b32_e32 v13, v6, v7, vcc_lo
	s_cselect_b32 vcc_lo, -1, 0
	s_cmp_eq_u32 s3, 3
	v_cndmask_b32_e32 v13, v13, v8, vcc_lo
	s_cselect_b32 vcc_lo, -1, 0
	s_add_co_i32 s0, s8, 2
	s_mov_b64 s[8:9], s[10:11]
	s_and_b32 s0, s0, 3
	v_cndmask_b32_e32 v16, v13, v9, vcc_lo
	s_cmp_eq_u32 s0, 1
	s_cselect_b32 vcc_lo, -1, 0
	s_cmp_eq_u32 s0, 2
	v_cndmask_b32_e32 v13, v6, v7, vcc_lo
	s_cselect_b32 vcc_lo, -1, 0
	s_cmp_eq_u32 s0, 3
	s_delay_alu instid0(VALU_DEP_1) | instskip(SKIP_2) | instid1(SALU_CYCLE_1)
	v_cndmask_b32_e32 v13, v13, v8, vcc_lo
	s_cselect_b32 vcc_lo, -1, 0
	s_xor_b32 s1, s3, 2
	s_cmp_eq_u32 s1, 1
	s_cselect_b32 s0, -1, 0
	s_cmp_eq_u32 s1, 2
	v_dual_cndmask_b32 v14, v6, v7, s0 :: v_dual_cndmask_b32 v17, v13, v9, vcc_lo
	s_cselect_b32 vcc_lo, -1, 0
	s_cmp_eq_u32 s1, 3
	s_delay_alu instid0(VALU_DEP_1) | instskip(NEXT) | instid1(VALU_DEP_2)
	v_cndmask_b32_e32 v13, v14, v8, vcc_lo
	v_pk_mul_f32 v[16:17], v[2:3], v[16:17]
	s_cselect_b32 vcc_lo, -1, 0
	s_cmp_eq_u64 s[6:7], s[10:11]
	s_delay_alu instid0(VALU_DEP_1) | instskip(NEXT) | instid1(VALU_DEP_1)
	v_dual_cndmask_b32 v14, v13, v9 :: v_dual_add_f32 v13, 0, v16
	v_pk_mul_f32 v[14:15], v[4:5], v[14:15]
	s_delay_alu instid0(VALU_DEP_2) | instskip(NEXT) | instid1(VALU_DEP_1)
	v_add_f32_e32 v13, v13, v17
	v_add_f32_e32 v13, v13, v14
	s_delay_alu instid0(VALU_DEP_1) | instskip(NEXT) | instid1(VALU_DEP_1)
	v_add_f32_e32 v13, v13, v15
	v_add_f32_e32 v13, v12, v13
	global_store_b32 v[10:11], v13, off
	s_wait_xcnt 0x0
	v_add_nc_u64_e32 v[10:11], s[4:5], v[10:11]
	s_cbranch_scc0 .LBB12_5
.LBB12_6:
	s_endpgm
	.section	.rodata,"a",@progbits
	.p2align	6, 0x0
	.amdhsa_kernel _ZL12ssm_conv_f32ILb0ELm128ELm4EEvPKfS1_S1_iiiiPfiiil
		.amdhsa_group_segment_fixed_size 0
		.amdhsa_private_segment_fixed_size 0
		.amdhsa_kernarg_size 72
		.amdhsa_user_sgpr_count 2
		.amdhsa_user_sgpr_dispatch_ptr 0
		.amdhsa_user_sgpr_queue_ptr 0
		.amdhsa_user_sgpr_kernarg_segment_ptr 1
		.amdhsa_user_sgpr_dispatch_id 0
		.amdhsa_user_sgpr_kernarg_preload_length 0
		.amdhsa_user_sgpr_kernarg_preload_offset 0
		.amdhsa_user_sgpr_private_segment_size 0
		.amdhsa_wavefront_size32 1
		.amdhsa_uses_dynamic_stack 0
		.amdhsa_enable_private_segment 0
		.amdhsa_system_sgpr_workgroup_id_x 1
		.amdhsa_system_sgpr_workgroup_id_y 1
		.amdhsa_system_sgpr_workgroup_id_z 0
		.amdhsa_system_sgpr_workgroup_info 0
		.amdhsa_system_vgpr_workitem_id 0
		.amdhsa_next_free_vgpr 18
		.amdhsa_next_free_sgpr 18
		.amdhsa_named_barrier_count 0
		.amdhsa_reserve_vcc 1
		.amdhsa_float_round_mode_32 0
		.amdhsa_float_round_mode_16_64 0
		.amdhsa_float_denorm_mode_32 3
		.amdhsa_float_denorm_mode_16_64 3
		.amdhsa_fp16_overflow 0
		.amdhsa_memory_ordered 1
		.amdhsa_forward_progress 1
		.amdhsa_inst_pref_size 7
		.amdhsa_round_robin_scheduling 0
		.amdhsa_exception_fp_ieee_invalid_op 0
		.amdhsa_exception_fp_denorm_src 0
		.amdhsa_exception_fp_ieee_div_zero 0
		.amdhsa_exception_fp_ieee_overflow 0
		.amdhsa_exception_fp_ieee_underflow 0
		.amdhsa_exception_fp_ieee_inexact 0
		.amdhsa_exception_int_div_zero 0
	.end_amdhsa_kernel
	.section	.text._ZL12ssm_conv_f32ILb0ELm128ELm4EEvPKfS1_S1_iiiiPfiiil,"axG",@progbits,_ZL12ssm_conv_f32ILb0ELm128ELm4EEvPKfS1_S1_iiiiPfiiil,comdat
.Lfunc_end12:
	.size	_ZL12ssm_conv_f32ILb0ELm128ELm4EEvPKfS1_S1_iiiiPfiiil, .Lfunc_end12-_ZL12ssm_conv_f32ILb0ELm128ELm4EEvPKfS1_S1_iiiiPfiiil
                                        ; -- End function
	.set _ZL12ssm_conv_f32ILb0ELm128ELm4EEvPKfS1_S1_iiiiPfiiil.num_vgpr, 18
	.set _ZL12ssm_conv_f32ILb0ELm128ELm4EEvPKfS1_S1_iiiiPfiiil.num_agpr, 0
	.set _ZL12ssm_conv_f32ILb0ELm128ELm4EEvPKfS1_S1_iiiiPfiiil.numbered_sgpr, 18
	.set _ZL12ssm_conv_f32ILb0ELm128ELm4EEvPKfS1_S1_iiiiPfiiil.num_named_barrier, 0
	.set _ZL12ssm_conv_f32ILb0ELm128ELm4EEvPKfS1_S1_iiiiPfiiil.private_seg_size, 0
	.set _ZL12ssm_conv_f32ILb0ELm128ELm4EEvPKfS1_S1_iiiiPfiiil.uses_vcc, 1
	.set _ZL12ssm_conv_f32ILb0ELm128ELm4EEvPKfS1_S1_iiiiPfiiil.uses_flat_scratch, 0
	.set _ZL12ssm_conv_f32ILb0ELm128ELm4EEvPKfS1_S1_iiiiPfiiil.has_dyn_sized_stack, 0
	.set _ZL12ssm_conv_f32ILb0ELm128ELm4EEvPKfS1_S1_iiiiPfiiil.has_recursion, 0
	.set _ZL12ssm_conv_f32ILb0ELm128ELm4EEvPKfS1_S1_iiiiPfiiil.has_indirect_call, 0
	.section	.AMDGPU.csdata,"",@progbits
; Kernel info:
; codeLenInByte = 840
; TotalNumSgprs: 20
; NumVgprs: 18
; ScratchSize: 0
; MemoryBound: 0
; FloatMode: 240
; IeeeMode: 1
; LDSByteSize: 0 bytes/workgroup (compile time only)
; SGPRBlocks: 0
; VGPRBlocks: 1
; NumSGPRsForWavesPerEU: 20
; NumVGPRsForWavesPerEU: 18
; NamedBarCnt: 0
; Occupancy: 16
; WaveLimiterHint : 0
; COMPUTE_PGM_RSRC2:SCRATCH_EN: 0
; COMPUTE_PGM_RSRC2:USER_SGPR: 2
; COMPUTE_PGM_RSRC2:TRAP_HANDLER: 0
; COMPUTE_PGM_RSRC2:TGID_X_EN: 1
; COMPUTE_PGM_RSRC2:TGID_Y_EN: 1
; COMPUTE_PGM_RSRC2:TGID_Z_EN: 0
; COMPUTE_PGM_RSRC2:TIDIG_COMP_CNT: 0
	.section	.text._ZL23ssm_conv_long_token_f32ILb0ELm128ELm4ELl32EEvPKfS1_S1_iiiiPfiiil,"axG",@progbits,_ZL23ssm_conv_long_token_f32ILb0ELm128ELm4ELl32EEvPKfS1_S1_iiiiPfiiil,comdat
	.globl	_ZL23ssm_conv_long_token_f32ILb0ELm128ELm4ELl32EEvPKfS1_S1_iiiiPfiiil ; -- Begin function _ZL23ssm_conv_long_token_f32ILb0ELm128ELm4ELl32EEvPKfS1_S1_iiiiPfiiil
	.p2align	8
	.type	_ZL23ssm_conv_long_token_f32ILb0ELm128ELm4ELl32EEvPKfS1_S1_iiiiPfiiil,@function
_ZL23ssm_conv_long_token_f32ILb0ELm128ELm4ELl32EEvPKfS1_S1_iiiiPfiiil: ; @_ZL23ssm_conv_long_token_f32ILb0ELm128ELm4ELl32EEvPKfS1_S1_iiiiPfiiil
; %bb.0:
	v_mul_u32_u24_e32 v1, 0x751, v0
	s_bfe_u32 s3, ttmp6, 0x40010
	s_and_b32 s2, ttmp7, 0xffff
	s_add_co_i32 s5, s3, 1
	s_bfe_u32 s4, ttmp6, 0x40004
	v_lshrrev_b32_e32 v3, 16, v1
	s_mul_i32 s5, s2, s5
	s_getreg_b32 s8, hwreg(HW_REG_IB_STS2, 6, 4)
	s_add_co_i32 s9, s4, s5
	s_cmp_eq_u32 s8, 0
	v_mul_lo_u16 v1, v3, 35
	s_clause 0x1
	s_load_b64 s[10:11], s[0:1], 0x0
	s_load_b128 s[4:7], s[0:1], 0x18
	s_cselect_b32 s2, s2, s9
	s_bfe_u32 s12, ttmp6, 0x40014
	s_lshr_b32 s9, ttmp7, 16
	v_sub_nc_u16 v16, v0, v1
	s_add_co_i32 s12, s12, 1
	s_bfe_u32 s14, ttmp6, 0x40008
	s_mul_i32 s12, s9, s12
	s_mov_b32 s3, 0
	v_or_b32_e32 v1, 0x80, v16
	s_add_co_i32 s14, s14, s12
	s_cmp_eq_u32 s8, 0
	v_and_b32_e32 v16, 0xffff, v16
	s_cselect_b32 s9, s9, s14
	v_mul_lo_u16 v2, 0xeb, v1
	s_bfe_u32 s12, ttmp6, 0x4000c
	s_and_b32 s15, ttmp6, 15
	s_add_co_i32 s12, s12, 1
	s_mov_b32 s13, s3
	v_lshrrev_b16 v17, 13, v2
	s_mul_i32 s12, ttmp9, s12
	s_wait_kmcnt 0x0
	s_mov_b32 s18, s4
	s_add_co_i32 s15, s15, s12
	s_cmp_eq_u32 s8, 0
	v_mul_lo_u16 v2, v17, 35
	v_and_b32_e32 v17, 0xffff, v17
	s_cselect_b32 s16, ttmp9, s15
	s_ashr_i32 s8, s5, 2
	s_ashr_i32 s19, s4, 31
	v_sub_nc_u16 v1, v1, v2
	s_mul_i32 s4, s6, s16
	s_mov_b32 s14, s5
	s_lshl_b32 s2, s2, 7
	s_ashr_i32 s15, s5, 31
	v_and_b32_e32 v1, 0xff, v1
	s_ashr_i32 s5, s4, 31
	s_lshl_b32 s12, s9, 5
	s_mul_u64 s[14:15], s[2:3], s[14:15]
	s_add_nc_u64 s[4:5], s[10:11], s[4:5]
	v_or_b32_e32 v2, 0x80, v1
	s_mul_u64 s[18:19], s[12:13], s[18:19]
	s_add_nc_u64 s[4:5], s[4:5], s[14:15]
	s_mov_b32 s6, exec_lo
	s_add_nc_u64 s[4:5], s[4:5], s[18:19]
	v_mul_lo_u16 v4, 0xeb, v2
	s_delay_alu instid0(VALU_DEP_1) | instskip(NEXT) | instid1(VALU_DEP_1)
	v_lshrrev_b16 v18, 13, v4
	v_mul_lo_u16 v4, v18, 35
	v_and_b32_e32 v18, 0xffff, v18
	s_delay_alu instid0(VALU_DEP_2) | instskip(NEXT) | instid1(VALU_DEP_1)
	v_sub_nc_u16 v2, v2, v4
	v_and_b32_e32 v2, 0xff, v2
	s_delay_alu instid0(VALU_DEP_1) | instskip(NEXT) | instid1(VALU_DEP_1)
	v_or_b32_e32 v4, 0x80, v2
	v_mul_lo_u16 v5, 0xeb, v4
	s_delay_alu instid0(VALU_DEP_1) | instskip(NEXT) | instid1(VALU_DEP_1)
	v_lshrrev_b16 v19, 13, v5
	v_mul_lo_u16 v5, v19, 35
	v_and_b32_e32 v19, 0xffff, v19
	v_add_nc_u32_e32 v17, v3, v17
	s_delay_alu instid0(VALU_DEP_3) | instskip(NEXT) | instid1(VALU_DEP_2)
	v_sub_nc_u16 v4, v4, v5
	v_add_nc_u32_e32 v18, v17, v18
	v_mad_u32 v37, s8, v3, v16
	v_mul_u32_u24_e32 v3, 0x8c, v3
	s_delay_alu instid0(VALU_DEP_4) | instskip(NEXT) | instid1(VALU_DEP_4)
	v_and_b32_e32 v4, 0xff, v4
	v_dual_lshlrev_b32 v16, 2, v16 :: v_dual_add_nc_u32 v19, v18, v19
	v_mad_u32 v38, v17, s8, v1
	v_mad_u32 v40, v18, s8, v2
	s_delay_alu instid0(VALU_DEP_4)
	v_or_b32_e32 v5, 0x80, v4
	s_clause 0x1
	global_load_b32 v43, v37, s[4:5] scale_offset
	global_load_b32 v44, v38, s[4:5] scale_offset
	v_mul_lo_u16 v6, 0xeb, v5
	v_mad_u32 v41, v19, s8, v4
	v_dual_lshlrev_b32 v2, 2, v2 :: v_dual_lshlrev_b32 v4, 2, v4
	v_add3_u32 v3, 0, v3, v16
	s_delay_alu instid0(VALU_DEP_4) | instskip(SKIP_1) | instid1(VALU_DEP_2)
	v_lshrrev_b16 v20, 13, v6
	v_lshlrev_b32_e32 v1, 2, v1
	v_mul_lo_u16 v6, v20, 35
	v_and_b32_e32 v20, 0xffff, v20
	s_delay_alu instid0(VALU_DEP_2) | instskip(NEXT) | instid1(VALU_DEP_1)
	v_sub_nc_u16 v5, v5, v6
	v_and_b32_e32 v5, 0xff, v5
	s_delay_alu instid0(VALU_DEP_1) | instskip(NEXT) | instid1(VALU_DEP_1)
	v_or_b32_e32 v6, 0x80, v5
	v_mul_lo_u16 v7, 0xeb, v6
	s_delay_alu instid0(VALU_DEP_1) | instskip(NEXT) | instid1(VALU_DEP_1)
	v_lshrrev_b16 v21, 13, v7
	v_mul_lo_u16 v7, v21, 35
	v_and_b32_e32 v21, 0xffff, v21
	s_delay_alu instid0(VALU_DEP_2) | instskip(NEXT) | instid1(VALU_DEP_1)
	v_sub_nc_u16 v6, v6, v7
	v_and_b32_e32 v6, 0xff, v6
	s_delay_alu instid0(VALU_DEP_1) | instskip(NEXT) | instid1(VALU_DEP_1)
	v_or_b32_e32 v7, 0x80, v6
	v_mul_lo_u16 v8, 0xeb, v7
	s_delay_alu instid0(VALU_DEP_1) | instskip(NEXT) | instid1(VALU_DEP_1)
	v_lshrrev_b16 v22, 13, v8
	v_mul_lo_u16 v8, v22, 35
	v_and_b32_e32 v22, 0xffff, v22
	v_add_nc_u32_e32 v20, v19, v20
	s_delay_alu instid0(VALU_DEP_3) | instskip(NEXT) | instid1(VALU_DEP_1)
	v_sub_nc_u16 v7, v7, v8
	v_and_b32_e32 v7, 0xff, v7
	s_delay_alu instid0(VALU_DEP_1) | instskip(NEXT) | instid1(VALU_DEP_1)
	v_or_b32_e32 v8, 0x80, v7
	v_mul_lo_u16 v9, 0xeb, v8
	s_delay_alu instid0(VALU_DEP_1) | instskip(NEXT) | instid1(VALU_DEP_1)
	v_lshrrev_b16 v23, 13, v9
	v_mul_lo_u16 v9, v23, 35
	v_and_b32_e32 v23, 0xffff, v23
	v_add_nc_u32_e32 v21, v20, v21
	s_delay_alu instid0(VALU_DEP_3) | instskip(NEXT) | instid1(VALU_DEP_2)
	v_sub_nc_u16 v8, v8, v9
	v_add_nc_u32_e32 v22, v21, v22
	s_delay_alu instid0(VALU_DEP_2) | instskip(NEXT) | instid1(VALU_DEP_2)
	v_and_b32_e32 v8, 0xff, v8
	v_add_nc_u32_e32 v23, v22, v23
	v_mad_u32 v42, v21, s8, v6
	v_lshlrev_b32_e32 v6, 2, v6
	s_delay_alu instid0(VALU_DEP_4) | instskip(NEXT) | instid1(VALU_DEP_1)
	v_or_b32_e32 v9, 0x80, v8
	v_mul_lo_u16 v10, 0xeb, v9
	s_delay_alu instid0(VALU_DEP_1) | instskip(NEXT) | instid1(VALU_DEP_1)
	v_lshrrev_b16 v24, 13, v10
	v_mul_lo_u16 v10, v24, 35
	v_and_b32_e32 v24, 0xffff, v24
	s_delay_alu instid0(VALU_DEP_2) | instskip(NEXT) | instid1(VALU_DEP_1)
	v_sub_nc_u16 v9, v9, v10
	v_and_b32_e32 v9, 0xff, v9
	s_delay_alu instid0(VALU_DEP_1) | instskip(NEXT) | instid1(VALU_DEP_1)
	v_or_b32_e32 v10, 0x80, v9
	v_mul_lo_u16 v11, 0xeb, v10
	s_delay_alu instid0(VALU_DEP_1) | instskip(NEXT) | instid1(VALU_DEP_1)
	v_lshrrev_b16 v25, 13, v11
	v_mul_lo_u16 v11, v25, 35
	v_and_b32_e32 v25, 0xffff, v25
	s_delay_alu instid0(VALU_DEP_2) | instskip(NEXT) | instid1(VALU_DEP_1)
	v_sub_nc_u16 v10, v10, v11
	v_and_b32_e32 v10, 0xff, v10
	s_delay_alu instid0(VALU_DEP_1) | instskip(NEXT) | instid1(VALU_DEP_1)
	v_or_b32_e32 v11, 0x80, v10
	v_mul_lo_u16 v12, 0xeb, v11
	s_delay_alu instid0(VALU_DEP_1) | instskip(NEXT) | instid1(VALU_DEP_1)
	v_lshrrev_b16 v26, 13, v12
	v_mul_lo_u16 v12, v26, 35
	v_and_b32_e32 v26, 0xffff, v26
	v_add_nc_u32_e32 v24, v23, v24
	s_delay_alu instid0(VALU_DEP_3) | instskip(NEXT) | instid1(VALU_DEP_1)
	v_sub_nc_u16 v11, v11, v12
	v_and_b32_e32 v11, 0xff, v11
	s_delay_alu instid0(VALU_DEP_1) | instskip(NEXT) | instid1(VALU_DEP_1)
	v_or_b32_e32 v12, 0x80, v11
	v_mul_lo_u16 v13, 0xeb, v12
	s_delay_alu instid0(VALU_DEP_1) | instskip(NEXT) | instid1(VALU_DEP_1)
	v_lshrrev_b16 v27, 13, v13
	v_mul_lo_u16 v13, v27, 35
	v_and_b32_e32 v27, 0xffff, v27
	v_add_nc_u32_e32 v25, v24, v25
	s_delay_alu instid0(VALU_DEP_3) | instskip(NEXT) | instid1(VALU_DEP_2)
	v_sub_nc_u16 v12, v12, v13
	v_add_nc_u32_e32 v26, v25, v26
	s_delay_alu instid0(VALU_DEP_2) | instskip(NEXT) | instid1(VALU_DEP_2)
	v_and_b32_e32 v12, 0xff, v12
	v_add_nc_u32_e32 v27, v26, v27
	v_mad_u32 v48, v25, s8, v10
	v_mad_u32 v49, v26, s8, v11
	s_delay_alu instid0(VALU_DEP_4) | instskip(NEXT) | instid1(VALU_DEP_4)
	v_or_b32_e32 v13, 0x80, v12
	v_mad_u32 v51, v27, s8, v12
	s_delay_alu instid0(VALU_DEP_2) | instskip(NEXT) | instid1(VALU_DEP_1)
	v_mul_lo_u16 v14, 0xeb, v13
	v_lshrrev_b16 v28, 13, v14
	s_delay_alu instid0(VALU_DEP_1) | instskip(SKIP_1) | instid1(VALU_DEP_2)
	v_mul_lo_u16 v14, v28, 35
	v_and_b32_e32 v28, 0xffff, v28
	v_sub_nc_u16 v13, v13, v14
	s_delay_alu instid0(VALU_DEP_1) | instskip(NEXT) | instid1(VALU_DEP_1)
	v_and_b32_e32 v13, 0xff, v13
	v_or_b32_e32 v14, 0x80, v13
	s_delay_alu instid0(VALU_DEP_1) | instskip(NEXT) | instid1(VALU_DEP_1)
	v_mul_lo_u16 v15, 0xeb, v14
	v_lshrrev_b16 v29, 13, v15
	s_delay_alu instid0(VALU_DEP_1) | instskip(SKIP_1) | instid1(VALU_DEP_2)
	v_mul_lo_u16 v15, v29, 35
	v_and_b32_e32 v29, 0xffff, v29
	v_sub_nc_u16 v14, v14, v15
	s_delay_alu instid0(VALU_DEP_1) | instskip(NEXT) | instid1(VALU_DEP_1)
	v_and_b32_e32 v14, 0xff, v14
	v_or_b32_e32 v15, 0x80, v14
	s_delay_alu instid0(VALU_DEP_1) | instskip(NEXT) | instid1(VALU_DEP_1)
	v_mul_lo_u16 v30, 0xeb, v15
	v_lshrrev_b16 v30, 13, v30
	s_delay_alu instid0(VALU_DEP_1) | instskip(SKIP_2) | instid1(VALU_DEP_3)
	v_mul_lo_u16 v31, v30, 35
	v_and_b32_e32 v30, 0xffff, v30
	v_add_nc_u32_e32 v28, v27, v28
	v_sub_nc_u16 v15, v15, v31
	s_delay_alu instid0(VALU_DEP_1) | instskip(NEXT) | instid1(VALU_DEP_1)
	v_and_b32_e32 v15, 0xff, v15
	v_or_b32_e32 v31, 0x80, v15
	s_delay_alu instid0(VALU_DEP_1) | instskip(NEXT) | instid1(VALU_DEP_1)
	v_mul_lo_u16 v32, 0xeb, v31
	v_lshrrev_b16 v32, 13, v32
	s_delay_alu instid0(VALU_DEP_1) | instskip(SKIP_2) | instid1(VALU_DEP_3)
	v_mul_lo_u16 v33, v32, 35
	v_and_b32_e32 v32, 0xffff, v32
	v_add_nc_u32_e32 v29, v28, v29
	v_sub_nc_u16 v31, v31, v33
	s_delay_alu instid0(VALU_DEP_2) | instskip(NEXT) | instid1(VALU_DEP_2)
	v_add_nc_u32_e32 v30, v29, v30
	v_and_b32_e32 v31, 0xff, v31
	s_delay_alu instid0(VALU_DEP_2) | instskip(NEXT) | instid1(VALU_DEP_2)
	v_add_nc_u32_e32 v32, v30, v32
	v_or_b32_e32 v33, 0x80, v31
	s_delay_alu instid0(VALU_DEP_2) | instskip(NEXT) | instid1(VALU_DEP_2)
	v_mad_u32 v56, v32, s8, v31
	v_mul_lo_u16 v34, 0xeb, v33
	s_delay_alu instid0(VALU_DEP_1) | instskip(NEXT) | instid1(VALU_DEP_1)
	v_lshrrev_b16 v34, 13, v34
	v_mul_lo_u16 v35, v34, 35
	v_and_b32_e32 v34, 0xffff, v34
	s_delay_alu instid0(VALU_DEP_2) | instskip(NEXT) | instid1(VALU_DEP_2)
	v_sub_nc_u16 v33, v33, v35
	v_add_nc_u32_e32 v34, v32, v34
	s_delay_alu instid0(VALU_DEP_2) | instskip(NEXT) | instid1(VALU_DEP_1)
	v_and_b32_e32 v33, 0xff, v33
	v_or_b32_e32 v35, 0x80, v33
	s_delay_alu instid0(VALU_DEP_3) | instskip(NEXT) | instid1(VALU_DEP_2)
	v_mad_u32 v16, v34, s8, v33
	v_mul_lo_u16 v36, 0xeb, v35
	s_delay_alu instid0(VALU_DEP_1) | instskip(NEXT) | instid1(VALU_DEP_1)
	v_lshrrev_b16 v36, 13, v36
	v_mul_lo_u16 v39, v36, 35
	v_and_b32_e32 v36, 0xffff, v36
	s_delay_alu instid0(VALU_DEP_2)
	v_sub_nc_u16 v35, v35, v39
	v_mad_u32 v39, v20, s8, v5
	s_clause 0x3
	global_load_b32 v38, v40, s[4:5] scale_offset
	global_load_b32 v45, v41, s[4:5] scale_offset
	;; [unrolled: 1-line block ×4, first 2 shown]
	v_and_b32_e32 v35, 0xff, v35
	s_wait_xcnt 0x3
	v_mad_u32 v40, v22, s8, v7
	s_wait_xcnt 0x2
	v_mad_u32 v41, v23, s8, v8
	;; [unrolled: 2-line block ×3, first 2 shown]
	v_lshlrev_b32_e32 v5, 2, v5
	v_or_b32_e32 v37, 0x80, v35
	s_delay_alu instid0(VALU_DEP_1) | instskip(NEXT) | instid1(VALU_DEP_1)
	v_mul_lo_u16 v39, 0xeb, v37
	v_lshrrev_b16 v39, 13, v39
	s_delay_alu instid0(VALU_DEP_1) | instskip(SKIP_1) | instid1(VALU_DEP_2)
	v_mul_lo_u16 v50, v39, 35
	v_and_b32_e32 v39, 0xffff, v39
	v_sub_nc_u16 v37, v37, v50
	s_clause 0x5
	global_load_b32 v50, v40, s[4:5] scale_offset
	global_load_b32 v52, v41, s[4:5] scale_offset
	global_load_b32 v40, v42, s[4:5] scale_offset
	global_load_b32 v41, v48, s[4:5] scale_offset
	global_load_b32 v53, v49, s[4:5] scale_offset
	global_load_b32 v54, v51, s[4:5] scale_offset
	s_wait_xcnt 0x3
	v_mad_u32 v42, v28, s8, v13
	s_wait_xcnt 0x1
	v_mad_u32 v49, v29, s8, v14
	v_and_b32_e32 v37, 0xff, v37
	s_wait_xcnt 0x0
	v_mad_u32 v51, v30, s8, v15
	s_clause 0x3
	global_load_b32 v58, v42, s[4:5] scale_offset
	global_load_b32 v59, v49, s[4:5] scale_offset
	;; [unrolled: 1-line block ×4, first 2 shown]
	v_or_b32_e32 v48, 0x80, v37
	s_delay_alu instid0(VALU_DEP_1) | instskip(NEXT) | instid1(VALU_DEP_1)
	v_mul_lo_u16 v55, 0xeb, v48
	v_lshrrev_b16 v55, 13, v55
	s_delay_alu instid0(VALU_DEP_1) | instskip(SKIP_3) | instid1(VALU_DEP_3)
	v_mul_lo_u16 v57, v55, 35
	s_wait_xcnt 0x3
	v_and_b32_e32 v42, 0xffff, v55
	v_add_nc_u32_e32 v36, v34, v36
	v_sub_nc_u16 v48, v48, v57
	s_delay_alu instid0(VALU_DEP_2) | instskip(NEXT) | instid1(VALU_DEP_2)
	v_add_nc_u32_e32 v39, v36, v39
	v_and_b32_e32 v48, 0xff, v48
	s_delay_alu instid0(VALU_DEP_2)
	v_add_nc_u32_e32 v42, v39, v42
	s_wait_xcnt 0x2
	v_mad_u32 v49, v36, s8, v35
	s_wait_xcnt 0x1
	v_mad_u32 v51, v39, s8, v37
	v_mad_u32 v55, v42, s8, v48
	s_clause 0x3
	global_load_b32 v56, v16, s[4:5] scale_offset
	global_load_b32 v57, v49, s[4:5] scale_offset
	;; [unrolled: 1-line block ×4, first 2 shown]
	s_wait_xcnt 0x3
	v_mul_u32_u24_e32 v16, 0x8c, v17
	s_wait_loadcnt 0x13
	ds_store_b32 v3, v43
	v_mul_u32_u24_e32 v3, 0x8c, v19
	v_add3_u32 v1, 0, v16, v1
	v_mul_u32_u24_e32 v16, 0x8c, v18
	s_delay_alu instid0(VALU_DEP_3)
	v_add3_u32 v3, 0, v3, v4
	v_mul_u32_u24_e32 v4, 0x8c, v21
	s_wait_loadcnt 0x12
	ds_store_b32 v1, v44
	v_add3_u32 v1, 0, v16, v2
	v_mul_u32_u24_e32 v2, 0x8c, v20
	s_wait_loadcnt 0x11
	ds_store_b32 v1, v38
	v_add3_u32 v1, 0, v2, v5
	v_mul_lo_u32 v2, 0x8c, v22
	s_wait_loadcnt 0x10
	ds_store_b32 v3, v45
	v_add3_u32 v3, 0, v4, v6
	v_mul_lo_u32 v4, 0x8c, v23
	v_mul_lo_u32 v5, 0x8c, v24
	;; [unrolled: 1-line block ×3, first 2 shown]
	s_wait_loadcnt 0xf
	ds_store_b32 v1, v46
	v_lshlrev_b32_e32 v1, 2, v7
	s_wait_loadcnt 0xe
	ds_store_b32 v3, v47
	v_dual_lshlrev_b32 v3, 2, v8 :: v_dual_lshlrev_b32 v7, 2, v9
	v_mul_lo_u32 v8, 0x8c, v26
	v_add3_u32 v1, 0, v2, v1
	v_lshlrev_b32_e32 v2, 2, v10
	s_delay_alu instid0(VALU_DEP_4)
	v_add3_u32 v3, 0, v4, v3
	v_add3_u32 v4, 0, v5, v7
	v_mul_lo_u32 v5, 0x8c, v27
	v_dual_lshlrev_b32 v9, 2, v37 :: v_dual_lshlrev_b32 v7, 2, v14
	v_lshlrev_b32_e32 v10, 2, v48
	s_wait_loadcnt 0xd
	ds_store_b32 v1, v50
	v_add3_u32 v1, 0, v6, v2
	v_lshlrev_b32_e32 v2, 2, v11
	s_wait_loadcnt 0xc
	ds_store_b32 v3, v52
	s_wait_loadcnt 0xb
	ds_store_b32 v4, v40
	v_lshlrev_b32_e32 v3, 2, v12
	v_mul_lo_u32 v4, 0x8c, v29
	s_wait_loadcnt 0xa
	ds_store_b32 v1, v41
	v_add3_u32 v1, 0, v8, v2
	v_mul_lo_u32 v2, 0x8c, v28
	v_add3_u32 v3, 0, v5, v3
	v_mul_lo_u32 v5, 0x8c, v30
	v_mul_lo_u32 v6, 0x8c, v32
	s_wait_loadcnt 0x9
	ds_store_b32 v1, v53
	v_lshlrev_b32_e32 v1, 2, v13
	s_wait_loadcnt 0x8
	ds_store_b32 v3, v54
	v_lshlrev_b32_e32 v3, 2, v15
	v_lshlrev_b32_e32 v8, 2, v31
	v_add3_u32 v1, 0, v2, v1
	v_add3_u32 v2, 0, v4, v7
	v_or_b32_e32 v4, 0x80, v48
	v_add3_u32 v3, 0, v5, v3
	v_add3_u32 v5, 0, v6, v8
	v_mul_lo_u32 v6, 0x8c, v34
	s_wait_loadcnt 0x7
	ds_store_b32 v1, v58
	v_mul_lo_u16 v1, 0xeb, v4
	s_wait_loadcnt 0x6
	ds_store_b32 v2, v59
	s_wait_loadcnt 0x5
	ds_store_b32 v3, v60
	;; [unrolled: 2-line block ×3, first 2 shown]
	v_lshlrev_b32_e32 v2, 2, v33
	v_mul_lo_u32 v3, 0x8c, v36
	v_mul_lo_u32 v5, 0x8c, v39
	v_lshrrev_b16 v1, 13, v1
	v_mul_lo_u32 v7, 0x8c, v42
	v_lshlrev_b32_e32 v8, 2, v35
	v_add3_u32 v6, 0, v6, v2
	s_delay_alu instid0(VALU_DEP_4) | instskip(SKIP_1) | instid1(VALU_DEP_4)
	v_mul_lo_u16 v2, v1, 35
	v_and_b32_e32 v1, 0xffff, v1
	v_add3_u32 v3, 0, v3, v8
	s_delay_alu instid0(VALU_DEP_3) | instskip(NEXT) | instid1(VALU_DEP_3)
	v_sub_nc_u16 v2, v4, v2
	v_add_nc_u32_e32 v1, v42, v1
	v_add3_u32 v4, 0, v5, v9
	v_add3_u32 v5, 0, v7, v10
	s_wait_loadcnt 0x3
	ds_store_b32 v6, v56
	s_wait_loadcnt 0x2
	ds_store_b32 v3, v57
	;; [unrolled: 2-line block ×4, first 2 shown]
	v_and_b32_e32 v2, 0xff, v2
	v_cmpx_gt_u32_e32 0x80, v1
	s_cbranch_execz .LBB13_2
; %bb.1:
	s_delay_alu instid0(VALU_DEP_2)
	v_mad_u32 v3, v1, s8, v2
	v_mul_lo_u32 v4, 0x8c, v1
	v_lshlrev_b32_e32 v5, 2, v2
	global_load_b32 v3, v3, s[4:5] scale_offset
	v_add3_u32 v4, 0, v4, v5
	s_wait_loadcnt 0x0
	ds_store_b32 v4, v3
.LBB13_2:
	s_or_b32 exec_lo, exec_lo, s6
	s_delay_alu instid0(VALU_DEP_2) | instskip(SKIP_1) | instid1(VALU_DEP_1)
	v_or_b32_e32 v2, 0x80, v2
	s_mov_b32 s6, exec_lo
	v_mul_lo_u16 v3, 0xeb, v2
	s_delay_alu instid0(VALU_DEP_1) | instskip(NEXT) | instid1(VALU_DEP_1)
	v_lshrrev_b16 v3, 13, v3
	v_mul_lo_u16 v4, v3, 35
	v_and_b32_e32 v3, 0xffff, v3
	s_delay_alu instid0(VALU_DEP_2) | instskip(NEXT) | instid1(VALU_DEP_2)
	v_sub_nc_u16 v2, v2, v4
	v_add_nc_u32_e32 v1, v1, v3
	s_delay_alu instid0(VALU_DEP_2) | instskip(NEXT) | instid1(VALU_DEP_2)
	v_and_b32_e32 v2, 0xff, v2
	v_cmpx_gt_u32_e32 0x80, v1
	s_cbranch_execz .LBB13_4
; %bb.3:
	s_delay_alu instid0(VALU_DEP_2)
	v_mad_u32 v3, v1, s8, v2
	v_mul_lo_u32 v4, 0x8c, v1
	v_lshlrev_b32_e32 v5, 2, v2
	global_load_b32 v3, v3, s[4:5] scale_offset
	v_add3_u32 v4, 0, v4, v5
	s_wait_loadcnt 0x0
	ds_store_b32 v4, v3
.LBB13_4:
	s_or_b32 exec_lo, exec_lo, s6
	s_delay_alu instid0(VALU_DEP_2) | instskip(SKIP_1) | instid1(VALU_DEP_1)
	v_or_b32_e32 v2, 0x80, v2
	s_mov_b32 s6, exec_lo
	v_mul_lo_u16 v3, 0xeb, v2
	s_delay_alu instid0(VALU_DEP_1) | instskip(NEXT) | instid1(VALU_DEP_1)
	v_lshrrev_b16 v3, 13, v3
	v_mul_lo_u16 v4, v3, 35
	v_and_b32_e32 v3, 0xffff, v3
	s_delay_alu instid0(VALU_DEP_2) | instskip(NEXT) | instid1(VALU_DEP_2)
	v_sub_nc_u16 v2, v2, v4
	v_add_nc_u32_e32 v1, v1, v3
	s_delay_alu instid0(VALU_DEP_2) | instskip(NEXT) | instid1(VALU_DEP_2)
	;; [unrolled: 26-line block ×7, first 2 shown]
	v_and_b32_e32 v2, 0xff, v2
	v_cmpx_gt_u32_e32 0x80, v1
	s_cbranch_execz .LBB13_16
; %bb.15:
	s_delay_alu instid0(VALU_DEP_2)
	v_mad_u32 v3, v1, s8, v2
	v_mul_lo_u32 v4, 0x8c, v1
	v_lshlrev_b32_e32 v5, 2, v2
	global_load_b32 v3, v3, s[4:5] scale_offset
	v_add3_u32 v4, 0, v4, v5
	s_wait_loadcnt 0x0
	ds_store_b32 v4, v3
.LBB13_16:
	s_or_b32 exec_lo, exec_lo, s6
	s_delay_alu instid0(SALU_CYCLE_1)
	s_mov_b32 s6, exec_lo
	v_cmpx_gt_u32_e32 0x380, v0
	s_cbranch_execz .LBB13_37
; %bb.17:
	v_or_b32_e32 v2, 0x80, v2
	s_mov_b32 s9, exec_lo
	s_delay_alu instid0(VALU_DEP_1) | instskip(NEXT) | instid1(VALU_DEP_1)
	v_mul_lo_u16 v3, 0xeb, v2
	v_lshrrev_b16 v3, 13, v3
	s_delay_alu instid0(VALU_DEP_1) | instskip(SKIP_1) | instid1(VALU_DEP_2)
	v_mul_lo_u16 v4, v3, 35
	v_and_b32_e32 v3, 0xffff, v3
	v_sub_nc_u16 v2, v2, v4
	s_delay_alu instid0(VALU_DEP_2) | instskip(NEXT) | instid1(VALU_DEP_2)
	v_add_nc_u32_e32 v1, v1, v3
	v_and_b32_e32 v2, 0xff, v2
	s_delay_alu instid0(VALU_DEP_2)
	v_cmpx_gt_u32_e32 0x80, v1
	s_cbranch_execz .LBB13_19
; %bb.18:
	s_delay_alu instid0(VALU_DEP_2)
	v_mad_u32 v3, v1, s8, v2
	v_mul_lo_u32 v4, 0x8c, v1
	v_lshlrev_b32_e32 v5, 2, v2
	global_load_b32 v3, v3, s[4:5] scale_offset
	v_add3_u32 v4, 0, v4, v5
	s_wait_loadcnt 0x0
	ds_store_b32 v4, v3
.LBB13_19:
	s_or_b32 exec_lo, exec_lo, s9
	v_cmp_gt_u32_e32 vcc_lo, 0x300, v0
	s_and_b32 exec_lo, exec_lo, vcc_lo
	s_cbranch_execz .LBB13_37
; %bb.20:
	v_or_b32_e32 v2, 0x80, v2
	s_mov_b32 s9, exec_lo
	s_delay_alu instid0(VALU_DEP_1) | instskip(NEXT) | instid1(VALU_DEP_1)
	v_mul_lo_u16 v3, 0xeb, v2
	v_lshrrev_b16 v3, 13, v3
	s_delay_alu instid0(VALU_DEP_1) | instskip(SKIP_1) | instid1(VALU_DEP_2)
	v_mul_lo_u16 v4, v3, 35
	v_and_b32_e32 v3, 0xffff, v3
	v_sub_nc_u16 v2, v2, v4
	s_delay_alu instid0(VALU_DEP_2) | instskip(NEXT) | instid1(VALU_DEP_2)
	v_add_nc_u32_e32 v1, v1, v3
	v_and_b32_e32 v2, 0xff, v2
	s_delay_alu instid0(VALU_DEP_2)
	v_cmpx_gt_u32_e32 0x80, v1
	s_cbranch_execz .LBB13_22
; %bb.21:
	s_delay_alu instid0(VALU_DEP_2)
	v_mad_u32 v3, v1, s8, v2
	v_mul_lo_u32 v4, 0x8c, v1
	v_lshlrev_b32_e32 v5, 2, v2
	global_load_b32 v3, v3, s[4:5] scale_offset
	v_add3_u32 v4, 0, v4, v5
	s_wait_loadcnt 0x0
	ds_store_b32 v4, v3
.LBB13_22:
	s_or_b32 exec_lo, exec_lo, s9
	v_cmp_gt_u32_e32 vcc_lo, 0x280, v0
	s_and_b32 exec_lo, exec_lo, vcc_lo
	;; [unrolled: 30-line block ×6, first 2 shown]
	s_cbranch_execz .LBB13_37
; %bb.35:
	v_or_b32_e32 v2, 0x80, v2
	s_delay_alu instid0(VALU_DEP_1) | instskip(NEXT) | instid1(VALU_DEP_1)
	v_mul_lo_u16 v3, 0xeb, v2
	v_lshrrev_b16 v3, 13, v3
	s_delay_alu instid0(VALU_DEP_1) | instskip(NEXT) | instid1(VALU_DEP_1)
	v_and_b32_e32 v4, 0xffff, v3
	v_add_nc_u32_e32 v1, v1, v4
	s_delay_alu instid0(VALU_DEP_1)
	v_cmp_gt_u32_e32 vcc_lo, 0x80, v1
	s_and_b32 exec_lo, exec_lo, vcc_lo
	s_cbranch_execz .LBB13_37
; %bb.36:
	v_mul_lo_u16 v3, v3, 35
	s_delay_alu instid0(VALU_DEP_1) | instskip(NEXT) | instid1(VALU_DEP_1)
	v_sub_nc_u16 v2, v2, v3
	v_and_b32_e32 v2, 0xff, v2
	s_delay_alu instid0(VALU_DEP_1)
	v_mad_u32 v3, v1, s8, v2
	v_mul_lo_u32 v1, 0x8c, v1
	v_lshlrev_b32_e32 v2, 2, v2
	global_load_b32 v3, v3, s[4:5] scale_offset
	v_add3_u32 v1, 0, v1, v2
	s_wait_loadcnt 0x0
	ds_store_b32 v1, v3
.LBB13_37:
	s_or_b32 exec_lo, exec_lo, s6
	s_clause 0x1
	s_load_b128 s[8:11], s[0:1], 0x8
	s_load_b64 s[14:15], s[0:1], 0x28
	s_ashr_i32 s4, s7, 2
	s_ashr_i32 s5, s7, 31
	v_mul_lo_u32 v2, s4, v0
	s_mov_b32 s4, s7
	s_wait_dscnt 0x0
	s_mul_u64 s[4:5], s[2:3], s[4:5]
	s_barrier_signal -1
	s_barrier_wait -1
	s_delay_alu instid0(VALU_DEP_1) | instskip(SKIP_3) | instid1(VALU_DEP_1)
	v_ashrrev_i32_e32 v3, 31, v2
	s_wait_kmcnt 0x0
	s_add_nc_u64 s[4:5], s[8:9], s[4:5]
	s_cmp_eq_u64 s[10:11], 0
	v_lshl_add_u64 v[2:3], v[2:3], 2, s[4:5]
	global_load_b128 v[2:5], v[2:3], off
	s_cbranch_scc1 .LBB13_39
; %bb.38:
	s_lshl_b64 s[4:5], s[2:3], 2
	s_delay_alu instid0(SALU_CYCLE_1)
	s_add_nc_u64 s[4:5], s[10:11], s[4:5]
	global_load_b32 v6, v0, s[4:5] scale_offset
	s_branch .LBB13_40
.LBB13_39:
	v_mov_b32_e32 v6, 0
.LBB13_40:
	s_wait_xcnt 0x0
	s_load_b64 s[4:5], s[0:1], 0x40
	s_wait_kmcnt 0x0
	s_sub_nc_u64 s[4:5], s[4:5], s[12:13]
	s_delay_alu instid0(SALU_CYCLE_1)
	v_cmp_lt_i64_e64 s6, s[4:5], 1
	s_and_b32 vcc_lo, exec_lo, s6
	s_cbranch_vccnz .LBB13_48
; %bb.41:
	v_min_u64 v[8:9], s[4:5], 32
	s_load_b96 s[8:10], s[0:1], 0x30
	v_mul_u32_u24_e32 v20, 0x8c, v0
	v_dual_mov_b32 v1, 0 :: v_dual_lshlrev_b32 v0, 2, v0
	s_wait_kmcnt 0x0
	s_mul_i32 s10, s10, s16
	s_ashr_i32 s7, s9, 31
	s_ashr_i32 s17, s8, 31
	;; [unrolled: 1-line block ×4, first 2 shown]
	s_cmp_eq_u64 s[4:5], 1
	s_mov_b32 s6, s9
	s_cselect_b32 s1, -1, 0
	s_cmp_lg_u32 s0, 1
	s_mov_b32 s16, s8
	s_cselect_b32 s8, -1, 0
	s_mul_u64 s[4:5], s[12:13], s[6:7]
	s_mul_u64 s[6:7], s[2:3], s[16:17]
	s_delay_alu instid0(VALU_DEP_3) | instskip(NEXT) | instid1(VALU_DEP_4)
	v_readfirstlane_b32 s2, v8
	v_readfirstlane_b32 s3, v9
	s_or_b32 s1, s1, s8
	s_add_nc_u64 s[8:9], s[14:15], s[10:11]
	s_and_b32 vcc_lo, exec_lo, s1
	s_cbranch_vccnz .LBB13_45
; %bb.42:
	s_wait_loadcnt 0x0
	v_dual_mov_b32 v12, v2 :: v_dual_add_nc_u32 v21, 0, v20
	s_add_nc_u64 s[10:11], s[8:9], s[4:5]
	v_dual_mov_b32 v13, v2 :: v_dual_mov_b32 v14, v3
	ds_load_2addr_b32 v[8:9], v21 offset1:1
	s_add_nc_u64 s[10:11], s[10:11], s[6:7]
	v_dual_mov_b32 v15, v3 :: v_dual_mov_b32 v16, v4
	v_add_nc_u64_e32 v[10:11], s[10:11], v[0:1]
	v_dual_mov_b32 v17, v4 :: v_dual_mov_b32 v18, v5
	v_dual_mov_b32 v19, v5 :: v_dual_mov_b32 v7, v6
	s_and_b64 s[10:11], s[2:3], 62
	s_delay_alu instid0(SALU_CYCLE_1)
	s_mov_b64 s[12:13], s[10:11]
.LBB13_43:                              ; =>This Inner Loop Header: Depth=1
	ds_load_2addr_b32 v[22:23], v21 offset0:1 offset1:2
	s_wait_dscnt 0x1
	v_pk_fma_f32 v[24:25], v[12:13], v[8:9], 0 op_sel_hi:[1,1,0]
	ds_load_2addr_b32 v[8:9], v21 offset0:2 offset1:3
	ds_load_2addr_b32 v[26:27], v21 offset0:3 offset1:4
	v_add_nc_u32_e32 v21, 8, v21
	s_add_nc_u64 s[12:13], s[12:13], -2
	s_delay_alu instid0(SALU_CYCLE_1) | instskip(SKIP_3) | instid1(VALU_DEP_1)
	s_cmp_lg_u64 s[12:13], 0
	s_wait_dscnt 0x2
	v_pk_fma_f32 v[22:23], v[14:15], v[22:23], v[24:25]
	s_wait_dscnt 0x1
	v_pk_fma_f32 v[22:23], v[16:17], v[8:9], v[22:23]
	s_wait_dscnt 0x0
	s_delay_alu instid0(VALU_DEP_1) | instskip(NEXT) | instid1(VALU_DEP_1)
	v_pk_fma_f32 v[22:23], v[18:19], v[26:27], v[22:23]
	v_pk_add_f32 v[22:23], v[6:7], v[22:23]
	global_store_b64 v[10:11], v[22:23], off
	s_wait_xcnt 0x0
	v_add_nc_u64_e32 v[10:11], 8, v[10:11]
	s_cbranch_scc1 .LBB13_43
; %bb.44:
	s_cmp_lg_u64 s[2:3], s[10:11]
	s_cselect_b32 s1, -1, 0
	s_delay_alu instid0(SALU_CYCLE_1)
	s_and_b32 vcc_lo, exec_lo, s1
	s_cbranch_vccnz .LBB13_46
	s_branch .LBB13_48
.LBB13_45:
	s_mov_b64 s[10:11], 0
	s_cbranch_execz .LBB13_48
.LBB13_46:
	s_ashr_i32 s1, s0, 31
	s_add_nc_u64 s[4:5], s[6:7], s[4:5]
	s_mul_u64 s[12:13], s[10:11], s[0:1]
	v_mov_b32_e32 v1, 0
	s_lshl_b64 s[6:7], s[12:13], 2
	s_sub_nc_u64 s[2:3], s[2:3], s[10:11]
	s_add_nc_u64 s[4:5], s[4:5], s[6:7]
	s_lshl_b64 s[0:1], s[0:1], 2
	s_add_nc_u64 s[4:5], s[8:9], s[4:5]
	s_delay_alu instid0(SALU_CYCLE_1) | instskip(SKIP_1) | instid1(SALU_CYCLE_1)
	v_add_nc_u64_e32 v[0:1], s[4:5], v[0:1]
	s_lshl_b32 s4, s10, 2
	v_add3_u32 v7, 0, s4, v20
.LBB13_47:                              ; =>This Inner Loop Header: Depth=1
	ds_load_2addr_b32 v[8:9], v7 offset1:1
	ds_load_2addr_b32 v[10:11], v7 offset0:2 offset1:3
	s_add_nc_u64 s[2:3], s[2:3], -1
	v_add_nc_u32_e32 v7, 4, v7
	s_cmp_lg_u64 s[2:3], 0
	s_wait_loadcnt_dscnt 0x1
	v_pk_mul_f32 v[8:9], v[2:3], v[8:9]
	s_wait_dscnt 0x0
	v_pk_mul_f32 v[10:11], v[4:5], v[10:11]
	s_delay_alu instid0(VALU_DEP_2) | instskip(NEXT) | instid1(VALU_DEP_1)
	v_add_f32_e32 v8, 0, v8
	v_add_f32_e32 v8, v8, v9
	s_delay_alu instid0(VALU_DEP_1) | instskip(NEXT) | instid1(VALU_DEP_1)
	v_add_f32_e32 v8, v8, v10
	v_add_f32_e32 v8, v8, v11
	s_delay_alu instid0(VALU_DEP_1)
	v_add_f32_e32 v8, v6, v8
	global_store_b32 v[0:1], v8, off
	s_wait_xcnt 0x0
	v_add_nc_u64_e32 v[0:1], s[0:1], v[0:1]
	s_cbranch_scc1 .LBB13_47
.LBB13_48:
	s_endpgm
	.section	.rodata,"a",@progbits
	.p2align	6, 0x0
	.amdhsa_kernel _ZL23ssm_conv_long_token_f32ILb0ELm128ELm4ELl32EEvPKfS1_S1_iiiiPfiiil
		.amdhsa_group_segment_fixed_size 0
		.amdhsa_private_segment_fixed_size 0
		.amdhsa_kernarg_size 72
		.amdhsa_user_sgpr_count 2
		.amdhsa_user_sgpr_dispatch_ptr 0
		.amdhsa_user_sgpr_queue_ptr 0
		.amdhsa_user_sgpr_kernarg_segment_ptr 1
		.amdhsa_user_sgpr_dispatch_id 0
		.amdhsa_user_sgpr_kernarg_preload_length 0
		.amdhsa_user_sgpr_kernarg_preload_offset 0
		.amdhsa_user_sgpr_private_segment_size 0
		.amdhsa_wavefront_size32 1
		.amdhsa_uses_dynamic_stack 0
		.amdhsa_enable_private_segment 0
		.amdhsa_system_sgpr_workgroup_id_x 1
		.amdhsa_system_sgpr_workgroup_id_y 1
		.amdhsa_system_sgpr_workgroup_id_z 1
		.amdhsa_system_sgpr_workgroup_info 0
		.amdhsa_system_vgpr_workitem_id 0
		.amdhsa_next_free_vgpr 64
		.amdhsa_next_free_sgpr 20
		.amdhsa_named_barrier_count 0
		.amdhsa_reserve_vcc 1
		.amdhsa_float_round_mode_32 0
		.amdhsa_float_round_mode_16_64 0
		.amdhsa_float_denorm_mode_32 3
		.amdhsa_float_denorm_mode_16_64 3
		.amdhsa_fp16_overflow 0
		.amdhsa_memory_ordered 1
		.amdhsa_forward_progress 1
		.amdhsa_inst_pref_size 48
		.amdhsa_round_robin_scheduling 0
		.amdhsa_exception_fp_ieee_invalid_op 0
		.amdhsa_exception_fp_denorm_src 0
		.amdhsa_exception_fp_ieee_div_zero 0
		.amdhsa_exception_fp_ieee_overflow 0
		.amdhsa_exception_fp_ieee_underflow 0
		.amdhsa_exception_fp_ieee_inexact 0
		.amdhsa_exception_int_div_zero 0
	.end_amdhsa_kernel
	.section	.text._ZL23ssm_conv_long_token_f32ILb0ELm128ELm4ELl32EEvPKfS1_S1_iiiiPfiiil,"axG",@progbits,_ZL23ssm_conv_long_token_f32ILb0ELm128ELm4ELl32EEvPKfS1_S1_iiiiPfiiil,comdat
.Lfunc_end13:
	.size	_ZL23ssm_conv_long_token_f32ILb0ELm128ELm4ELl32EEvPKfS1_S1_iiiiPfiiil, .Lfunc_end13-_ZL23ssm_conv_long_token_f32ILb0ELm128ELm4ELl32EEvPKfS1_S1_iiiiPfiiil
                                        ; -- End function
	.set _ZL23ssm_conv_long_token_f32ILb0ELm128ELm4ELl32EEvPKfS1_S1_iiiiPfiiil.num_vgpr, 64
	.set _ZL23ssm_conv_long_token_f32ILb0ELm128ELm4ELl32EEvPKfS1_S1_iiiiPfiiil.num_agpr, 0
	.set _ZL23ssm_conv_long_token_f32ILb0ELm128ELm4ELl32EEvPKfS1_S1_iiiiPfiiil.numbered_sgpr, 20
	.set _ZL23ssm_conv_long_token_f32ILb0ELm128ELm4ELl32EEvPKfS1_S1_iiiiPfiiil.num_named_barrier, 0
	.set _ZL23ssm_conv_long_token_f32ILb0ELm128ELm4ELl32EEvPKfS1_S1_iiiiPfiiil.private_seg_size, 0
	.set _ZL23ssm_conv_long_token_f32ILb0ELm128ELm4ELl32EEvPKfS1_S1_iiiiPfiiil.uses_vcc, 1
	.set _ZL23ssm_conv_long_token_f32ILb0ELm128ELm4ELl32EEvPKfS1_S1_iiiiPfiiil.uses_flat_scratch, 0
	.set _ZL23ssm_conv_long_token_f32ILb0ELm128ELm4ELl32EEvPKfS1_S1_iiiiPfiiil.has_dyn_sized_stack, 0
	.set _ZL23ssm_conv_long_token_f32ILb0ELm128ELm4ELl32EEvPKfS1_S1_iiiiPfiiil.has_recursion, 0
	.set _ZL23ssm_conv_long_token_f32ILb0ELm128ELm4ELl32EEvPKfS1_S1_iiiiPfiiil.has_indirect_call, 0
	.section	.AMDGPU.csdata,"",@progbits
; Kernel info:
; codeLenInByte = 6076
; TotalNumSgprs: 22
; NumVgprs: 64
; ScratchSize: 0
; MemoryBound: 0
; FloatMode: 240
; IeeeMode: 1
; LDSByteSize: 0 bytes/workgroup (compile time only)
; SGPRBlocks: 0
; VGPRBlocks: 3
; NumSGPRsForWavesPerEU: 22
; NumVGPRsForWavesPerEU: 64
; NamedBarCnt: 0
; Occupancy: 16
; WaveLimiterHint : 0
; COMPUTE_PGM_RSRC2:SCRATCH_EN: 0
; COMPUTE_PGM_RSRC2:USER_SGPR: 2
; COMPUTE_PGM_RSRC2:TRAP_HANDLER: 0
; COMPUTE_PGM_RSRC2:TGID_X_EN: 1
; COMPUTE_PGM_RSRC2:TGID_Y_EN: 1
; COMPUTE_PGM_RSRC2:TGID_Z_EN: 1
; COMPUTE_PGM_RSRC2:TIDIG_COMP_CNT: 0
	.section	.text._ZL12ssm_conv_f32ILb0ELm128ELm5EEvPKfS1_S1_iiiiPfiiil,"axG",@progbits,_ZL12ssm_conv_f32ILb0ELm128ELm5EEvPKfS1_S1_iiiiPfiiil,comdat
	.globl	_ZL12ssm_conv_f32ILb0ELm128ELm5EEvPKfS1_S1_iiiiPfiiil ; -- Begin function _ZL12ssm_conv_f32ILb0ELm128ELm5EEvPKfS1_S1_iiiiPfiiil
	.p2align	8
	.type	_ZL12ssm_conv_f32ILb0ELm128ELm5EEvPKfS1_S1_iiiiPfiiil,@function
_ZL12ssm_conv_f32ILb0ELm128ELm5EEvPKfS1_S1_iiiiPfiiil: ; @_ZL12ssm_conv_f32ILb0ELm128ELm5EEvPKfS1_S1_iiiiPfiiil
; %bb.0:
	s_load_b64 s[2:3], s[0:1], 0x10
	s_bfe_u32 s4, ttmp6, 0x40010
	s_bfe_u32 s5, ttmp6, 0x40004
	s_add_co_i32 s4, s4, 1
	s_getreg_b32 s7, hwreg(HW_REG_IB_STS2, 6, 4)
	s_mul_i32 s4, ttmp7, s4
	s_delay_alu instid0(SALU_CYCLE_1) | instskip(SKIP_2) | instid1(SALU_CYCLE_1)
	s_add_co_i32 s5, s5, s4
	s_cmp_eq_u32 s7, 0
	s_cselect_b32 s4, ttmp7, s5
	s_ashr_i32 s5, s4, 31
	s_delay_alu instid0(SALU_CYCLE_1)
	s_lshl_b64 s[8:9], s[4:5], 7
	s_wait_kmcnt 0x0
	s_cmp_eq_u64 s[2:3], 0
	s_cbranch_scc1 .LBB14_2
; %bb.1:
	s_lshl_b64 s[4:5], s[8:9], 2
	s_delay_alu instid0(SALU_CYCLE_1)
	s_add_nc_u64 s[2:3], s[2:3], s[4:5]
	global_load_b32 v20, v0, s[2:3] scale_offset
	s_wait_xcnt 0x0
	s_load_b64 s[2:3], s[0:1], 0x40
	s_wait_kmcnt 0x0
	v_cmp_lt_i64_e64 s4, s[2:3], 1
	s_and_b32 vcc_lo, exec_lo, s4
	s_cbranch_vccz .LBB14_3
	s_branch .LBB14_6
.LBB14_2:
	v_mov_b32_e32 v20, 0
	s_load_b64 s[2:3], s[0:1], 0x40
	s_wait_kmcnt 0x0
	v_cmp_lt_i64_e64 s4, s[2:3], 1
	s_and_b32 vcc_lo, exec_lo, s4
	s_cbranch_vccnz .LBB14_6
.LBB14_3:
	s_clause 0x1
	s_load_b96 s[4:6], s[0:1], 0x1c
	s_load_b128 s[12:15], s[0:1], 0x0
	s_bfe_u32 s10, ttmp6, 0x4000c
	s_and_b32 s11, ttmp6, 15
	s_add_co_i32 s10, s10, 1
	s_delay_alu instid0(SALU_CYCLE_1) | instskip(NEXT) | instid1(SALU_CYCLE_1)
	s_mul_i32 s10, ttmp9, s10
	s_add_co_i32 s10, s11, s10
	s_wait_kmcnt 0x0
	s_ashr_i32 s11, s6, 31
	s_ashr_i32 s16, s6, 2
	s_cmp_eq_u32 s7, 0
	v_mul_lo_u32 v10, s16, v0
	s_cselect_b32 s16, ttmp9, s10
	s_ashr_i32 s7, s4, 2
	s_mov_b32 s10, s6
	v_mul_lo_u32 v12, s7, v0
	s_mul_u64 s[6:7], s[8:9], s[10:11]
	s_mul_i32 s10, s5, s16
	s_ashr_i32 s5, s4, 31
	s_ashr_i32 s11, s10, 31
	s_mul_u64 s[4:5], s[8:9], s[4:5]
	s_add_nc_u64 s[10:11], s[12:13], s[10:11]
	v_ashrrev_i32_e32 v11, 31, v10
	s_add_nc_u64 s[6:7], s[14:15], s[6:7]
	s_add_nc_u64 s[4:5], s[10:11], s[4:5]
	s_delay_alu instid0(VALU_DEP_2) | instskip(NEXT) | instid1(VALU_DEP_2)
	v_ashrrev_i32_e32 v13, 31, v12
	v_lshl_add_u64 v[18:19], v[10:11], 2, s[6:7]
	s_delay_alu instid0(VALU_DEP_2)
	v_lshl_add_u64 v[14:15], v[12:13], 2, s[4:5]
	global_load_b128 v[2:5], v[18:19], off
	s_clause 0x1
	global_load_b128 v[6:9], v[14:15], off
	global_load_b32 v17, v12, s[4:5] offset:16 scale_offset
	global_load_b32 v11, v10, s[6:7] offset:16 scale_offset
	s_wait_xcnt 0x0
	s_load_b96 s[4:6], s[0:1], 0x30
	s_wait_kmcnt 0x0
	s_mul_i32 s6, s6, s16
	s_load_b64 s[0:1], s[0:1], 0x28
	s_ashr_i32 s7, s6, 31
	s_ashr_i32 s11, s4, 31
	s_mov_b32 s10, s4
	s_cmp_eq_u64 s[2:3], 1
	s_mul_u64 s[10:11], s[8:9], s[10:11]
	s_wait_kmcnt 0x0
	s_add_nc_u64 s[0:1], s[0:1], s[6:7]
	s_mov_b32 s7, 0
	s_add_nc_u64 s[8:9], s[0:1], s[10:11]
	s_wait_loadcnt 0x3
	v_dual_mov_b32 v12, v3 :: v_dual_mov_b32 v13, v4
	s_wait_loadcnt 0x2
	v_dual_mov_b32 v18, v7 :: v_dual_mov_b32 v19, v8
	v_fma_f32 v1, v2, v6, 0
	v_dual_mov_b32 v10, v5 :: v_dual_mov_b32 v16, v9
	s_delay_alu instid0(VALU_DEP_3) | instskip(SKIP_1) | instid1(VALU_DEP_2)
	v_pk_mul_f32 v[18:19], v[12:13], v[18:19]
	s_wait_loadcnt 0x0
	v_pk_mul_f32 v[4:5], v[10:11], v[16:17]
	s_delay_alu instid0(VALU_DEP_2) | instskip(NEXT) | instid1(VALU_DEP_1)
	v_add_f32_e32 v1, v1, v18
	v_dual_add_f32 v1, v1, v19 :: v_dual_mov_b32 v19, 0
	s_delay_alu instid0(VALU_DEP_1) | instskip(NEXT) | instid1(VALU_DEP_1)
	v_add_f32_e32 v1, v1, v4
	v_add_f32_e32 v1, v1, v5
	s_delay_alu instid0(VALU_DEP_1)
	v_add_f32_e32 v1, v20, v1
	global_store_b32 v0, v1, s[8:9] scale_offset
	s_cbranch_scc1 .LBB14_6
; %bb.4:
	s_wait_xcnt 0x0
	s_ashr_i32 s8, s5, 2
	v_dual_mov_b32 v4, v17 :: v_dual_lshlrev_b32 v18, 2, v0
	s_ashr_i32 s9, s8, 31
	s_add_nc_u64 s[4:5], s[2:3], -1
	s_lshl_b64 s[8:9], s[8:9], 2
	v_add_nc_u64_e32 v[0:1], 20, v[14:15]
	s_add_nc_u64 s[2:3], s[10:11], s[8:9]
	s_mov_b64 s[10:11], 1
	s_add_nc_u64 s[0:1], s[0:1], s[2:3]
	s_mov_b64 s[12:13], 0xcccccccd
	v_add_nc_u64_e32 v[14:15], s[0:1], v[18:19]
	s_mov_b64 s[14:15], 0xffffffff
	s_mov_b64 s[16:17], 0xcccccccc
	;; [unrolled: 1-line block ×7, first 2 shown]
.LBB14_5:                               ; =>This Inner Loop Header: Depth=1
	global_load_b32 v3, v[0:1], off
	s_mov_b32 s6, s11
	s_and_b64 s[0:1], s[10:11], s[14:15]
	s_mov_b32 s34, s18
	s_mov_b32 s35, s7
	;; [unrolled: 1-line block ×4, first 2 shown]
	s_mul_u64 s[74:75], s[6:7], s[12:13]
	s_mul_u64 s[76:77], s[0:1], s[12:13]
	;; [unrolled: 1-line block ×3, first 2 shown]
	s_mov_b32 s6, s19
	s_mul_u64 s[80:81], s[34:35], s[12:13]
	s_mov_b32 s3, s7
	s_mov_b32 s37, s7
	;; [unrolled: 1-line block ×4, first 2 shown]
	s_mul_u64 s[82:83], s[42:43], s[12:13]
	s_mov_b32 s2, s77
	s_mul_u64 s[76:77], s[6:7], s[12:13]
	s_mov_b32 s36, s81
	;; [unrolled: 2-line block ×3, first 2 shown]
	s_mov_b32 s45, s7
	s_mov_b32 s58, s24
	;; [unrolled: 1-line block ×3, first 2 shown]
	s_mul_u64 s[84:85], s[50:51], s[12:13]
	s_mov_b32 s44, s83
	s_add_nc_u64 s[2:3], s[74:75], s[2:3]
	s_add_nc_u64 s[36:37], s[76:77], s[36:37]
	s_mul_u64 s[74:75], s[6:7], s[12:13]
	s_mul_u64 s[76:77], s[6:7], s[16:17]
	s_mov_b32 s6, s23
	s_mov_b32 s53, s7
	;; [unrolled: 1-line block ×4, first 2 shown]
	s_mul_u64 s[0:1], s[0:1], s[16:17]
	s_mul_u64 s[34:35], s[34:35], s[16:17]
	s_mul_u64 s[86:87], s[58:59], s[12:13]
	s_mov_b32 s52, s85
	s_mov_b32 s28, s3
	;; [unrolled: 1-line block ×5, first 2 shown]
	s_add_nc_u64 s[44:45], s[74:75], s[44:45]
	s_mul_u64 s[74:75], s[6:7], s[12:13]
	s_mul_u64 s[82:83], s[6:7], s[16:17]
	s_mov_b32 s6, s25
	s_mov_b32 s61, s7
	s_mul_u64 s[42:43], s[42:43], s[16:17]
	s_mul_u64 s[88:89], s[66:67], s[12:13]
	s_mov_b32 s60, s87
	s_add_nc_u64 s[0:1], s[0:1], s[2:3]
	s_add_nc_u64 s[2:3], s[34:35], s[36:37]
	s_mov_b32 s46, s45
	s_mov_b32 s45, s7
	s_add_nc_u64 s[34:35], s[74:75], s[52:53]
	s_mul_u64 s[36:37], s[6:7], s[12:13]
	s_mul_u64 s[52:53], s[6:7], s[16:17]
	s_mov_b32 s6, s27
	s_mov_b32 s29, s7
	;; [unrolled: 1-line block ×6, first 2 shown]
	s_mul_u64 s[50:51], s[50:51], s[16:17]
	s_mov_b32 s68, s89
	s_mov_b32 s30, s1
	;; [unrolled: 1-line block ×3, first 2 shown]
	s_add_nc_u64 s[0:1], s[42:43], s[44:45]
	s_mov_b32 s54, s35
	s_mov_b32 s35, s7
	s_add_nc_u64 s[2:3], s[36:37], s[60:61]
	s_mul_u64 s[36:37], s[6:7], s[12:13]
	s_mov_b32 s47, s7
	s_mov_b32 s49, s7
	s_mul_u64 s[58:59], s[58:59], s[16:17]
	s_add_nc_u64 s[28:29], s[28:29], s[30:31]
	s_add_nc_u64 s[30:31], s[38:39], s[40:41]
	s_mov_b32 s48, s1
	s_add_nc_u64 s[0:1], s[50:51], s[34:35]
	s_mov_b32 s62, s3
	s_mov_b32 s3, s7
	s_add_nc_u64 s[34:35], s[36:37], s[68:69]
	s_mov_b32 s55, s7
	s_mov_b32 s57, s7
	s_mul_u64 s[66:67], s[66:67], s[16:17]
	s_add_nc_u64 s[28:29], s[78:79], s[28:29]
	s_add_nc_u64 s[30:31], s[80:81], s[30:31]
	;; [unrolled: 1-line block ×3, first 2 shown]
	s_mov_b32 s56, s1
	s_add_nc_u64 s[0:1], s[58:59], s[2:3]
	s_mov_b32 s70, s35
	s_mov_b32 s35, s7
	;; [unrolled: 1-line block ×4, first 2 shown]
	s_lshr_b64 s[2:3], s[28:29], 2
	s_lshr_b64 s[28:29], s[30:31], 2
	s_add_nc_u64 s[30:31], s[76:77], s[36:37]
	s_add_nc_u64 s[36:37], s[54:55], s[56:57]
	s_mov_b32 s64, s1
	s_add_nc_u64 s[0:1], s[66:67], s[34:35]
	s_mov_b32 s71, s7
	s_mov_b32 s73, s7
	s_mul_u64 s[42:43], s[6:7], s[16:17]
	s_mul_i32 s0, s2, 5
	s_mul_i32 s6, s28, 5
	s_lshr_b64 s[2:3], s[30:31], 2
	s_add_nc_u64 s[28:29], s[82:83], s[36:37]
	s_add_nc_u64 s[30:31], s[62:63], s[64:65]
	s_mov_b32 s72, s1
	s_sub_co_i32 s33, s10, s0
	s_mul_i32 s34, s2, 5
	s_lshr_b64 s[0:1], s[28:29], 2
	s_add_nc_u64 s[2:3], s[52:53], s[30:31]
	s_add_nc_u64 s[28:29], s[70:71], s[72:73]
	s_mul_i32 s31, s0, 5
	s_lshr_b64 s[0:1], s[2:3], 2
	s_add_nc_u64 s[2:3], s[42:43], s[28:29]
	s_mul_i32 s0, s0, 5
	s_lshr_b64 s[2:3], s[2:3], 2
	s_sub_co_i32 s6, s18, s6
	s_mul_i32 s1, s2, 5
	s_sub_co_i32 s30, s20, s34
	s_sub_co_i32 s3, s26, s1
	;; [unrolled: 1-line block ×4, first 2 shown]
	s_cmp_eq_u32 s3, 4
	s_wait_xcnt 0x0
	v_add_nc_u64_e32 v[0:1], 4, v[0:1]
	s_cselect_b32 vcc_lo, -1, 0
	s_cmp_eq_u32 s3, 3
	s_add_nc_u64 s[4:5], s[4:5], -1
	s_cselect_b32 s0, -1, 0
	s_cmp_eq_u32 s3, 2
	s_add_nc_u64 s[10:11], s[10:11], 1
	s_cselect_b32 s1, -1, 0
	s_cmp_eq_u32 s3, 1
	s_add_nc_u64 s[18:19], s[18:19], 1
	;; [unrolled: 3-line block ×4, first 2 shown]
	s_add_nc_u64 s[24:25], s[24:25], 1
	s_add_nc_u64 s[26:27], s[26:27], 1
	s_wait_loadcnt 0x0
	v_dual_cndmask_b32 v4, v4, v3, vcc_lo :: v_dual_cndmask_b32 v7, v7, v3, s2
	v_dual_cndmask_b32 v6, v6, v3, s3 :: v_dual_cndmask_b32 v9, v9, v3, s0
	s_cselect_b32 vcc_lo, -1, 0
	v_cndmask_b32_e64 v8, v8, v3, s1
	s_cmp_eq_u32 s33, 2
	s_delay_alu instid0(VALU_DEP_2) | instskip(SKIP_2) | instid1(VALU_DEP_1)
	v_cndmask_b32_e32 v3, v6, v7, vcc_lo
	s_cselect_b32 vcc_lo, -1, 0
	s_cmp_eq_u32 s33, 3
	v_cndmask_b32_e32 v3, v3, v8, vcc_lo
	s_cselect_b32 vcc_lo, -1, 0
	s_cmp_eq_u32 s33, 4
	s_delay_alu instid0(VALU_DEP_1)
	v_cndmask_b32_e32 v3, v3, v9, vcc_lo
	s_cselect_b32 vcc_lo, -1, 0
	s_cmp_eq_u32 s29, 1
	s_cselect_b32 s0, -1, 0
	s_cmp_eq_u32 s29, 2
	v_cndmask_b32_e64 v5, v6, v7, s0
	s_cselect_b32 s0, -1, 0
	s_cmp_eq_u32 s29, 3
	s_delay_alu instid0(VALU_DEP_1) | instskip(SKIP_3) | instid1(VALU_DEP_2)
	v_cndmask_b32_e64 v5, v5, v8, s0
	v_cndmask_b32_e32 v3, v3, v4, vcc_lo
	s_cselect_b32 vcc_lo, -1, 0
	s_cmp_eq_u32 s29, 4
	v_cndmask_b32_e32 v5, v5, v9, vcc_lo
	s_cselect_b32 vcc_lo, -1, 0
	s_cmp_eq_u32 s28, 1
	v_fma_f32 v3, v2, v3, 0
	s_cselect_b32 s0, -1, 0
	s_cmp_eq_u32 s28, 2
	v_dual_cndmask_b32 v17, v6, v7, s0 :: v_dual_cndmask_b32 v16, v5, v4, vcc_lo
	s_cselect_b32 s0, -1, 0
	s_cmp_eq_u32 s28, 3
	s_delay_alu instid0(VALU_DEP_1) | instskip(SKIP_2) | instid1(VALU_DEP_1)
	v_cndmask_b32_e64 v5, v17, v8, s0
	s_cselect_b32 vcc_lo, -1, 0
	s_cmp_eq_u32 s28, 4
	v_cndmask_b32_e32 v5, v5, v9, vcc_lo
	s_cselect_b32 vcc_lo, -1, 0
	s_cmp_eq_u32 s30, 1
	s_cselect_b32 s0, -1, 0
	s_cmp_eq_u32 s30, 2
	v_cndmask_b32_e64 v18, v6, v7, s0
	s_cselect_b32 s0, -1, 0
	v_cndmask_b32_e32 v17, v5, v4, vcc_lo
	s_cmp_eq_u32 s30, 3
	s_delay_alu instid0(VALU_DEP_2) | instskip(SKIP_2) | instid1(VALU_DEP_1)
	v_cndmask_b32_e64 v5, v18, v8, s0
	s_cselect_b32 vcc_lo, -1, 0
	s_cmp_eq_u32 s30, 4
	v_cndmask_b32_e32 v5, v5, v9, vcc_lo
	s_cselect_b32 vcc_lo, -1, 0
	s_cmp_eq_u32 s6, 1
	v_pk_mul_f32 v[16:17], v[12:13], v[16:17]
	s_cselect_b32 s0, -1, 0
	s_cmp_eq_u32 s6, 2
	v_cndmask_b32_e64 v18, v6, v7, s0
	s_cselect_b32 s0, -1, 0
	v_add_f32_e32 v3, v3, v16
	s_cmp_eq_u32 s6, 3
	s_delay_alu instid0(VALU_DEP_2) | instskip(SKIP_3) | instid1(VALU_DEP_2)
	v_cndmask_b32_e64 v16, v18, v8, s0
	v_cndmask_b32_e32 v18, v5, v4, vcc_lo
	s_cselect_b32 vcc_lo, -1, 0
	s_cmp_eq_u32 s6, 4
	v_cndmask_b32_e32 v5, v16, v9, vcc_lo
	s_cselect_b32 vcc_lo, -1, 0
	v_add_f32_e32 v3, v3, v17
	s_cmp_eq_u64 s[4:5], 0
	s_delay_alu instid0(VALU_DEP_2) | instskip(NEXT) | instid1(VALU_DEP_1)
	v_cndmask_b32_e32 v19, v5, v4, vcc_lo
	v_pk_mul_f32 v[16:17], v[10:11], v[18:19]
	s_delay_alu instid0(VALU_DEP_1) | instskip(NEXT) | instid1(VALU_DEP_1)
	v_add_f32_e32 v3, v3, v16
	v_add_f32_e32 v3, v3, v17
	s_delay_alu instid0(VALU_DEP_1)
	v_add_f32_e32 v3, v20, v3
	global_store_b32 v[14:15], v3, off
	s_wait_xcnt 0x0
	v_add_nc_u64_e32 v[14:15], s[8:9], v[14:15]
	s_cbranch_scc0 .LBB14_5
.LBB14_6:
	s_endpgm
	.section	.rodata,"a",@progbits
	.p2align	6, 0x0
	.amdhsa_kernel _ZL12ssm_conv_f32ILb0ELm128ELm5EEvPKfS1_S1_iiiiPfiiil
		.amdhsa_group_segment_fixed_size 0
		.amdhsa_private_segment_fixed_size 0
		.amdhsa_kernarg_size 72
		.amdhsa_user_sgpr_count 2
		.amdhsa_user_sgpr_dispatch_ptr 0
		.amdhsa_user_sgpr_queue_ptr 0
		.amdhsa_user_sgpr_kernarg_segment_ptr 1
		.amdhsa_user_sgpr_dispatch_id 0
		.amdhsa_user_sgpr_kernarg_preload_length 0
		.amdhsa_user_sgpr_kernarg_preload_offset 0
		.amdhsa_user_sgpr_private_segment_size 0
		.amdhsa_wavefront_size32 1
		.amdhsa_uses_dynamic_stack 0
		.amdhsa_enable_private_segment 0
		.amdhsa_system_sgpr_workgroup_id_x 1
		.amdhsa_system_sgpr_workgroup_id_y 1
		.amdhsa_system_sgpr_workgroup_id_z 0
		.amdhsa_system_sgpr_workgroup_info 0
		.amdhsa_system_vgpr_workitem_id 0
		.amdhsa_next_free_vgpr 21
		.amdhsa_next_free_sgpr 90
		.amdhsa_named_barrier_count 0
		.amdhsa_reserve_vcc 1
		.amdhsa_float_round_mode_32 0
		.amdhsa_float_round_mode_16_64 0
		.amdhsa_float_denorm_mode_32 3
		.amdhsa_float_denorm_mode_16_64 3
		.amdhsa_fp16_overflow 0
		.amdhsa_memory_ordered 1
		.amdhsa_forward_progress 1
		.amdhsa_inst_pref_size 14
		.amdhsa_round_robin_scheduling 0
		.amdhsa_exception_fp_ieee_invalid_op 0
		.amdhsa_exception_fp_denorm_src 0
		.amdhsa_exception_fp_ieee_div_zero 0
		.amdhsa_exception_fp_ieee_overflow 0
		.amdhsa_exception_fp_ieee_underflow 0
		.amdhsa_exception_fp_ieee_inexact 0
		.amdhsa_exception_int_div_zero 0
	.end_amdhsa_kernel
	.section	.text._ZL12ssm_conv_f32ILb0ELm128ELm5EEvPKfS1_S1_iiiiPfiiil,"axG",@progbits,_ZL12ssm_conv_f32ILb0ELm128ELm5EEvPKfS1_S1_iiiiPfiiil,comdat
.Lfunc_end14:
	.size	_ZL12ssm_conv_f32ILb0ELm128ELm5EEvPKfS1_S1_iiiiPfiiil, .Lfunc_end14-_ZL12ssm_conv_f32ILb0ELm128ELm5EEvPKfS1_S1_iiiiPfiiil
                                        ; -- End function
	.set _ZL12ssm_conv_f32ILb0ELm128ELm5EEvPKfS1_S1_iiiiPfiiil.num_vgpr, 21
	.set _ZL12ssm_conv_f32ILb0ELm128ELm5EEvPKfS1_S1_iiiiPfiiil.num_agpr, 0
	.set _ZL12ssm_conv_f32ILb0ELm128ELm5EEvPKfS1_S1_iiiiPfiiil.numbered_sgpr, 90
	.set _ZL12ssm_conv_f32ILb0ELm128ELm5EEvPKfS1_S1_iiiiPfiiil.num_named_barrier, 0
	.set _ZL12ssm_conv_f32ILb0ELm128ELm5EEvPKfS1_S1_iiiiPfiiil.private_seg_size, 0
	.set _ZL12ssm_conv_f32ILb0ELm128ELm5EEvPKfS1_S1_iiiiPfiiil.uses_vcc, 1
	.set _ZL12ssm_conv_f32ILb0ELm128ELm5EEvPKfS1_S1_iiiiPfiiil.uses_flat_scratch, 0
	.set _ZL12ssm_conv_f32ILb0ELm128ELm5EEvPKfS1_S1_iiiiPfiiil.has_dyn_sized_stack, 0
	.set _ZL12ssm_conv_f32ILb0ELm128ELm5EEvPKfS1_S1_iiiiPfiiil.has_recursion, 0
	.set _ZL12ssm_conv_f32ILb0ELm128ELm5EEvPKfS1_S1_iiiiPfiiil.has_indirect_call, 0
	.section	.AMDGPU.csdata,"",@progbits
; Kernel info:
; codeLenInByte = 1668
; TotalNumSgprs: 92
; NumVgprs: 21
; ScratchSize: 0
; MemoryBound: 0
; FloatMode: 240
; IeeeMode: 1
; LDSByteSize: 0 bytes/workgroup (compile time only)
; SGPRBlocks: 0
; VGPRBlocks: 1
; NumSGPRsForWavesPerEU: 92
; NumVGPRsForWavesPerEU: 21
; NamedBarCnt: 0
; Occupancy: 16
; WaveLimiterHint : 0
; COMPUTE_PGM_RSRC2:SCRATCH_EN: 0
; COMPUTE_PGM_RSRC2:USER_SGPR: 2
; COMPUTE_PGM_RSRC2:TRAP_HANDLER: 0
; COMPUTE_PGM_RSRC2:TGID_X_EN: 1
; COMPUTE_PGM_RSRC2:TGID_Y_EN: 1
; COMPUTE_PGM_RSRC2:TGID_Z_EN: 0
; COMPUTE_PGM_RSRC2:TIDIG_COMP_CNT: 0
	.section	.text._ZL23ssm_conv_long_token_f32ILb0ELm128ELm5ELl32EEvPKfS1_S1_iiiiPfiiil,"axG",@progbits,_ZL23ssm_conv_long_token_f32ILb0ELm128ELm5ELl32EEvPKfS1_S1_iiiiPfiiil,comdat
	.globl	_ZL23ssm_conv_long_token_f32ILb0ELm128ELm5ELl32EEvPKfS1_S1_iiiiPfiiil ; -- Begin function _ZL23ssm_conv_long_token_f32ILb0ELm128ELm5ELl32EEvPKfS1_S1_iiiiPfiiil
	.p2align	8
	.type	_ZL23ssm_conv_long_token_f32ILb0ELm128ELm5ELl32EEvPKfS1_S1_iiiiPfiiil,@function
_ZL23ssm_conv_long_token_f32ILb0ELm128ELm5ELl32EEvPKfS1_S1_iiiiPfiiil: ; @_ZL23ssm_conv_long_token_f32ILb0ELm128ELm5ELl32EEvPKfS1_S1_iiiiPfiiil
; %bb.0:
	v_mul_u32_u24_e32 v1, 0x71d, v0
	s_bfe_u32 s3, ttmp6, 0x40010
	s_and_b32 s2, ttmp7, 0xffff
	s_add_co_i32 s5, s3, 1
	s_bfe_u32 s4, ttmp6, 0x40004
	v_lshrrev_b32_e32 v3, 16, v1
	s_mul_i32 s5, s2, s5
	s_getreg_b32 s8, hwreg(HW_REG_IB_STS2, 6, 4)
	s_add_co_i32 s9, s4, s5
	s_cmp_eq_u32 s8, 0
	v_mul_lo_u16 v1, v3, 36
	s_clause 0x1
	s_load_b64 s[10:11], s[0:1], 0x0
	s_load_b128 s[4:7], s[0:1], 0x18
	s_cselect_b32 s2, s2, s9
	s_bfe_u32 s12, ttmp6, 0x40014
	s_lshr_b32 s9, ttmp7, 16
	v_sub_nc_u16 v16, v0, v1
	s_add_co_i32 s12, s12, 1
	s_bfe_u32 s14, ttmp6, 0x40008
	s_mul_i32 s12, s9, s12
	s_mov_b32 s3, 0
	v_or_b32_e32 v1, 0x80, v16
	s_add_co_i32 s14, s14, s12
	s_cmp_eq_u32 s8, 0
	v_and_b32_e32 v16, 0xffff, v16
	s_cselect_b32 s9, s9, s14
	v_mul_lo_u16 v2, v1, 57
	s_bfe_u32 s12, ttmp6, 0x4000c
	s_and_b32 s15, ttmp6, 15
	s_add_co_i32 s12, s12, 1
	s_mov_b32 s13, s3
	v_lshrrev_b16 v17, 11, v2
	s_mul_i32 s12, ttmp9, s12
	s_wait_kmcnt 0x0
	s_mov_b32 s18, s4
	s_add_co_i32 s15, s15, s12
	s_cmp_eq_u32 s8, 0
	v_mul_lo_u16 v2, v17, 36
	v_and_b32_e32 v17, 0xffff, v17
	s_cselect_b32 s16, ttmp9, s15
	s_ashr_i32 s8, s5, 2
	s_ashr_i32 s19, s4, 31
	v_sub_nc_u16 v1, v1, v2
	s_mul_i32 s4, s6, s16
	s_mov_b32 s14, s5
	s_lshl_b32 s2, s2, 7
	s_ashr_i32 s15, s5, 31
	v_and_b32_e32 v1, 0xff, v1
	s_ashr_i32 s5, s4, 31
	s_lshl_b32 s12, s9, 5
	s_mul_u64 s[14:15], s[2:3], s[14:15]
	s_add_nc_u64 s[4:5], s[10:11], s[4:5]
	v_or_b32_e32 v2, 0x80, v1
	s_mul_u64 s[18:19], s[12:13], s[18:19]
	s_add_nc_u64 s[4:5], s[4:5], s[14:15]
	s_mov_b32 s6, exec_lo
	s_add_nc_u64 s[4:5], s[4:5], s[18:19]
	v_mul_lo_u16 v4, v2, 57
	s_delay_alu instid0(VALU_DEP_1) | instskip(NEXT) | instid1(VALU_DEP_1)
	v_lshrrev_b16 v18, 11, v4
	v_mul_lo_u16 v4, v18, 36
	v_and_b32_e32 v18, 0xffff, v18
	s_delay_alu instid0(VALU_DEP_2) | instskip(NEXT) | instid1(VALU_DEP_1)
	v_sub_nc_u16 v2, v2, v4
	v_and_b32_e32 v2, 0xff, v2
	s_delay_alu instid0(VALU_DEP_1) | instskip(NEXT) | instid1(VALU_DEP_1)
	v_or_b32_e32 v4, 0x80, v2
	v_mul_lo_u16 v5, v4, 57
	s_delay_alu instid0(VALU_DEP_1) | instskip(NEXT) | instid1(VALU_DEP_1)
	v_lshrrev_b16 v19, 11, v5
	v_mul_lo_u16 v5, v19, 36
	v_and_b32_e32 v19, 0xffff, v19
	v_add_nc_u32_e32 v17, v3, v17
	s_delay_alu instid0(VALU_DEP_3) | instskip(NEXT) | instid1(VALU_DEP_2)
	v_sub_nc_u16 v4, v4, v5
	v_add_nc_u32_e32 v18, v17, v18
	v_mad_u32 v37, s8, v3, v16
	v_mul_u32_u24_e32 v3, 0x90, v3
	s_delay_alu instid0(VALU_DEP_4) | instskip(NEXT) | instid1(VALU_DEP_4)
	v_and_b32_e32 v4, 0xff, v4
	v_dual_lshlrev_b32 v16, 2, v16 :: v_dual_add_nc_u32 v19, v18, v19
	v_mad_u32 v38, v17, s8, v1
	v_mad_u32 v40, v18, s8, v2
	s_delay_alu instid0(VALU_DEP_4)
	v_or_b32_e32 v5, 0x80, v4
	s_clause 0x1
	global_load_b32 v43, v37, s[4:5] scale_offset
	global_load_b32 v44, v38, s[4:5] scale_offset
	v_mul_lo_u16 v6, v5, 57
	v_mad_u32 v41, v19, s8, v4
	v_dual_lshlrev_b32 v2, 2, v2 :: v_dual_lshlrev_b32 v4, 2, v4
	v_add3_u32 v3, 0, v3, v16
	s_delay_alu instid0(VALU_DEP_4) | instskip(SKIP_1) | instid1(VALU_DEP_2)
	v_lshrrev_b16 v20, 11, v6
	v_lshlrev_b32_e32 v1, 2, v1
	v_mul_lo_u16 v6, v20, 36
	v_and_b32_e32 v20, 0xffff, v20
	s_delay_alu instid0(VALU_DEP_2) | instskip(NEXT) | instid1(VALU_DEP_1)
	v_sub_nc_u16 v5, v5, v6
	v_and_b32_e32 v5, 0xff, v5
	s_delay_alu instid0(VALU_DEP_1) | instskip(NEXT) | instid1(VALU_DEP_1)
	v_or_b32_e32 v6, 0x80, v5
	v_mul_lo_u16 v7, v6, 57
	s_delay_alu instid0(VALU_DEP_1) | instskip(NEXT) | instid1(VALU_DEP_1)
	v_lshrrev_b16 v21, 11, v7
	v_mul_lo_u16 v7, v21, 36
	v_and_b32_e32 v21, 0xffff, v21
	s_delay_alu instid0(VALU_DEP_2) | instskip(NEXT) | instid1(VALU_DEP_1)
	v_sub_nc_u16 v6, v6, v7
	v_and_b32_e32 v6, 0xff, v6
	s_delay_alu instid0(VALU_DEP_1) | instskip(NEXT) | instid1(VALU_DEP_1)
	v_or_b32_e32 v7, 0x80, v6
	v_mul_lo_u16 v8, v7, 57
	s_delay_alu instid0(VALU_DEP_1) | instskip(NEXT) | instid1(VALU_DEP_1)
	v_lshrrev_b16 v22, 11, v8
	v_mul_lo_u16 v8, v22, 36
	v_and_b32_e32 v22, 0xffff, v22
	v_add_nc_u32_e32 v20, v19, v20
	s_delay_alu instid0(VALU_DEP_3) | instskip(NEXT) | instid1(VALU_DEP_1)
	v_sub_nc_u16 v7, v7, v8
	v_and_b32_e32 v7, 0xff, v7
	s_delay_alu instid0(VALU_DEP_1) | instskip(NEXT) | instid1(VALU_DEP_1)
	v_or_b32_e32 v8, 0x80, v7
	v_mul_lo_u16 v9, v8, 57
	s_delay_alu instid0(VALU_DEP_1) | instskip(NEXT) | instid1(VALU_DEP_1)
	v_lshrrev_b16 v23, 11, v9
	v_mul_lo_u16 v9, v23, 36
	v_and_b32_e32 v23, 0xffff, v23
	v_add_nc_u32_e32 v21, v20, v21
	s_delay_alu instid0(VALU_DEP_3) | instskip(NEXT) | instid1(VALU_DEP_2)
	v_sub_nc_u16 v8, v8, v9
	v_add_nc_u32_e32 v22, v21, v22
	s_delay_alu instid0(VALU_DEP_2) | instskip(NEXT) | instid1(VALU_DEP_2)
	v_and_b32_e32 v8, 0xff, v8
	v_add_nc_u32_e32 v23, v22, v23
	v_mad_u32 v42, v21, s8, v6
	v_lshlrev_b32_e32 v6, 2, v6
	s_delay_alu instid0(VALU_DEP_4) | instskip(NEXT) | instid1(VALU_DEP_1)
	v_or_b32_e32 v9, 0x80, v8
	v_mul_lo_u16 v10, v9, 57
	s_delay_alu instid0(VALU_DEP_1) | instskip(NEXT) | instid1(VALU_DEP_1)
	v_lshrrev_b16 v24, 11, v10
	v_mul_lo_u16 v10, v24, 36
	v_and_b32_e32 v24, 0xffff, v24
	s_delay_alu instid0(VALU_DEP_2) | instskip(NEXT) | instid1(VALU_DEP_1)
	v_sub_nc_u16 v9, v9, v10
	v_and_b32_e32 v9, 0xff, v9
	s_delay_alu instid0(VALU_DEP_1) | instskip(NEXT) | instid1(VALU_DEP_1)
	v_or_b32_e32 v10, 0x80, v9
	v_mul_lo_u16 v11, v10, 57
	s_delay_alu instid0(VALU_DEP_1) | instskip(NEXT) | instid1(VALU_DEP_1)
	v_lshrrev_b16 v25, 11, v11
	v_mul_lo_u16 v11, v25, 36
	v_and_b32_e32 v25, 0xffff, v25
	s_delay_alu instid0(VALU_DEP_2) | instskip(NEXT) | instid1(VALU_DEP_1)
	v_sub_nc_u16 v10, v10, v11
	v_and_b32_e32 v10, 0xff, v10
	s_delay_alu instid0(VALU_DEP_1) | instskip(NEXT) | instid1(VALU_DEP_1)
	v_or_b32_e32 v11, 0x80, v10
	v_mul_lo_u16 v12, v11, 57
	s_delay_alu instid0(VALU_DEP_1) | instskip(NEXT) | instid1(VALU_DEP_1)
	v_lshrrev_b16 v26, 11, v12
	v_mul_lo_u16 v12, v26, 36
	v_and_b32_e32 v26, 0xffff, v26
	v_add_nc_u32_e32 v24, v23, v24
	s_delay_alu instid0(VALU_DEP_3) | instskip(NEXT) | instid1(VALU_DEP_1)
	v_sub_nc_u16 v11, v11, v12
	v_and_b32_e32 v11, 0xff, v11
	s_delay_alu instid0(VALU_DEP_1) | instskip(NEXT) | instid1(VALU_DEP_1)
	v_or_b32_e32 v12, 0x80, v11
	v_mul_lo_u16 v13, v12, 57
	s_delay_alu instid0(VALU_DEP_1) | instskip(NEXT) | instid1(VALU_DEP_1)
	v_lshrrev_b16 v27, 11, v13
	v_mul_lo_u16 v13, v27, 36
	v_and_b32_e32 v27, 0xffff, v27
	v_add_nc_u32_e32 v25, v24, v25
	s_delay_alu instid0(VALU_DEP_3) | instskip(NEXT) | instid1(VALU_DEP_2)
	v_sub_nc_u16 v12, v12, v13
	v_add_nc_u32_e32 v26, v25, v26
	s_delay_alu instid0(VALU_DEP_2) | instskip(NEXT) | instid1(VALU_DEP_2)
	v_and_b32_e32 v12, 0xff, v12
	v_add_nc_u32_e32 v27, v26, v27
	v_mad_u32 v48, v25, s8, v10
	v_mad_u32 v49, v26, s8, v11
	s_delay_alu instid0(VALU_DEP_4) | instskip(NEXT) | instid1(VALU_DEP_4)
	v_or_b32_e32 v13, 0x80, v12
	v_mad_u32 v51, v27, s8, v12
	s_delay_alu instid0(VALU_DEP_2) | instskip(NEXT) | instid1(VALU_DEP_1)
	v_mul_lo_u16 v14, v13, 57
	v_lshrrev_b16 v28, 11, v14
	s_delay_alu instid0(VALU_DEP_1) | instskip(SKIP_1) | instid1(VALU_DEP_2)
	v_mul_lo_u16 v14, v28, 36
	v_and_b32_e32 v28, 0xffff, v28
	v_sub_nc_u16 v13, v13, v14
	s_delay_alu instid0(VALU_DEP_1) | instskip(NEXT) | instid1(VALU_DEP_1)
	v_and_b32_e32 v13, 0xff, v13
	v_or_b32_e32 v14, 0x80, v13
	s_delay_alu instid0(VALU_DEP_1) | instskip(NEXT) | instid1(VALU_DEP_1)
	v_mul_lo_u16 v15, v14, 57
	v_lshrrev_b16 v29, 11, v15
	s_delay_alu instid0(VALU_DEP_1) | instskip(SKIP_1) | instid1(VALU_DEP_2)
	v_mul_lo_u16 v15, v29, 36
	v_and_b32_e32 v29, 0xffff, v29
	v_sub_nc_u16 v14, v14, v15
	s_delay_alu instid0(VALU_DEP_1) | instskip(NEXT) | instid1(VALU_DEP_1)
	v_and_b32_e32 v14, 0xff, v14
	v_or_b32_e32 v15, 0x80, v14
	s_delay_alu instid0(VALU_DEP_1) | instskip(NEXT) | instid1(VALU_DEP_1)
	v_mul_lo_u16 v30, v15, 57
	v_lshrrev_b16 v30, 11, v30
	s_delay_alu instid0(VALU_DEP_1) | instskip(SKIP_2) | instid1(VALU_DEP_3)
	v_mul_lo_u16 v31, v30, 36
	v_and_b32_e32 v30, 0xffff, v30
	v_add_nc_u32_e32 v28, v27, v28
	v_sub_nc_u16 v15, v15, v31
	s_delay_alu instid0(VALU_DEP_1) | instskip(NEXT) | instid1(VALU_DEP_1)
	v_and_b32_e32 v15, 0xff, v15
	v_or_b32_e32 v31, 0x80, v15
	s_delay_alu instid0(VALU_DEP_1) | instskip(NEXT) | instid1(VALU_DEP_1)
	v_mul_lo_u16 v32, v31, 57
	v_lshrrev_b16 v32, 11, v32
	s_delay_alu instid0(VALU_DEP_1) | instskip(SKIP_2) | instid1(VALU_DEP_3)
	v_mul_lo_u16 v33, v32, 36
	v_and_b32_e32 v32, 0xffff, v32
	v_add_nc_u32_e32 v29, v28, v29
	v_sub_nc_u16 v31, v31, v33
	s_delay_alu instid0(VALU_DEP_2) | instskip(NEXT) | instid1(VALU_DEP_2)
	v_add_nc_u32_e32 v30, v29, v30
	v_and_b32_e32 v31, 0xff, v31
	s_delay_alu instid0(VALU_DEP_2) | instskip(NEXT) | instid1(VALU_DEP_2)
	v_add_nc_u32_e32 v32, v30, v32
	v_or_b32_e32 v33, 0x80, v31
	s_delay_alu instid0(VALU_DEP_2) | instskip(NEXT) | instid1(VALU_DEP_2)
	v_mad_u32 v56, v32, s8, v31
	v_mul_lo_u16 v34, v33, 57
	s_delay_alu instid0(VALU_DEP_1) | instskip(NEXT) | instid1(VALU_DEP_1)
	v_lshrrev_b16 v34, 11, v34
	v_mul_lo_u16 v35, v34, 36
	v_and_b32_e32 v34, 0xffff, v34
	s_delay_alu instid0(VALU_DEP_2) | instskip(NEXT) | instid1(VALU_DEP_2)
	v_sub_nc_u16 v33, v33, v35
	v_add_nc_u32_e32 v34, v32, v34
	s_delay_alu instid0(VALU_DEP_2) | instskip(NEXT) | instid1(VALU_DEP_1)
	v_and_b32_e32 v33, 0xff, v33
	v_or_b32_e32 v35, 0x80, v33
	s_delay_alu instid0(VALU_DEP_3) | instskip(NEXT) | instid1(VALU_DEP_2)
	v_mad_u32 v16, v34, s8, v33
	v_mul_lo_u16 v36, v35, 57
	s_delay_alu instid0(VALU_DEP_1) | instskip(NEXT) | instid1(VALU_DEP_1)
	v_lshrrev_b16 v36, 11, v36
	v_mul_lo_u16 v39, v36, 36
	v_and_b32_e32 v36, 0xffff, v36
	s_delay_alu instid0(VALU_DEP_2)
	v_sub_nc_u16 v35, v35, v39
	v_mad_u32 v39, v20, s8, v5
	s_clause 0x3
	global_load_b32 v38, v40, s[4:5] scale_offset
	global_load_b32 v45, v41, s[4:5] scale_offset
	;; [unrolled: 1-line block ×4, first 2 shown]
	v_and_b32_e32 v35, 0xff, v35
	s_wait_xcnt 0x3
	v_mad_u32 v40, v22, s8, v7
	s_wait_xcnt 0x2
	v_mad_u32 v41, v23, s8, v8
	;; [unrolled: 2-line block ×3, first 2 shown]
	v_lshlrev_b32_e32 v5, 2, v5
	v_or_b32_e32 v37, 0x80, v35
	s_delay_alu instid0(VALU_DEP_1) | instskip(NEXT) | instid1(VALU_DEP_1)
	v_mul_lo_u16 v39, v37, 57
	v_lshrrev_b16 v39, 11, v39
	s_delay_alu instid0(VALU_DEP_1) | instskip(SKIP_1) | instid1(VALU_DEP_2)
	v_mul_lo_u16 v50, v39, 36
	v_and_b32_e32 v39, 0xffff, v39
	v_sub_nc_u16 v37, v37, v50
	s_clause 0x5
	global_load_b32 v50, v40, s[4:5] scale_offset
	global_load_b32 v52, v41, s[4:5] scale_offset
	;; [unrolled: 1-line block ×6, first 2 shown]
	s_wait_xcnt 0x3
	v_mad_u32 v42, v28, s8, v13
	s_wait_xcnt 0x1
	v_mad_u32 v49, v29, s8, v14
	v_and_b32_e32 v37, 0xff, v37
	s_wait_xcnt 0x0
	v_mad_u32 v51, v30, s8, v15
	s_clause 0x3
	global_load_b32 v58, v42, s[4:5] scale_offset
	global_load_b32 v59, v49, s[4:5] scale_offset
	;; [unrolled: 1-line block ×4, first 2 shown]
	v_or_b32_e32 v48, 0x80, v37
	s_delay_alu instid0(VALU_DEP_1) | instskip(NEXT) | instid1(VALU_DEP_1)
	v_mul_lo_u16 v55, v48, 57
	v_lshrrev_b16 v55, 11, v55
	s_delay_alu instid0(VALU_DEP_1) | instskip(SKIP_3) | instid1(VALU_DEP_3)
	v_mul_lo_u16 v57, v55, 36
	s_wait_xcnt 0x3
	v_and_b32_e32 v42, 0xffff, v55
	v_add_nc_u32_e32 v36, v34, v36
	v_sub_nc_u16 v48, v48, v57
	s_delay_alu instid0(VALU_DEP_2) | instskip(NEXT) | instid1(VALU_DEP_2)
	v_add_nc_u32_e32 v39, v36, v39
	v_and_b32_e32 v48, 0xff, v48
	s_delay_alu instid0(VALU_DEP_2)
	v_add_nc_u32_e32 v42, v39, v42
	s_wait_xcnt 0x2
	v_mad_u32 v49, v36, s8, v35
	s_wait_xcnt 0x1
	v_mad_u32 v51, v39, s8, v37
	v_mad_u32 v55, v42, s8, v48
	s_clause 0x3
	global_load_b32 v56, v16, s[4:5] scale_offset
	global_load_b32 v57, v49, s[4:5] scale_offset
	;; [unrolled: 1-line block ×4, first 2 shown]
	s_wait_xcnt 0x3
	v_mul_u32_u24_e32 v16, 0x90, v17
	s_wait_loadcnt 0x13
	ds_store_b32 v3, v43
	v_mul_u32_u24_e32 v3, 0x90, v19
	v_add3_u32 v1, 0, v16, v1
	v_mul_u32_u24_e32 v16, 0x90, v18
	s_delay_alu instid0(VALU_DEP_3)
	v_add3_u32 v3, 0, v3, v4
	v_mul_u32_u24_e32 v4, 0x90, v21
	s_wait_loadcnt 0x12
	ds_store_b32 v1, v44
	v_add3_u32 v1, 0, v16, v2
	v_mul_u32_u24_e32 v2, 0x90, v20
	s_wait_loadcnt 0x11
	ds_store_b32 v1, v38
	v_add3_u32 v1, 0, v2, v5
	v_mul_lo_u32 v2, 0x90, v22
	s_wait_loadcnt 0x10
	ds_store_b32 v3, v45
	v_add3_u32 v3, 0, v4, v6
	v_mul_lo_u32 v4, 0x90, v23
	v_mul_lo_u32 v5, 0x90, v24
	;; [unrolled: 1-line block ×3, first 2 shown]
	s_wait_loadcnt 0xf
	ds_store_b32 v1, v46
	v_lshlrev_b32_e32 v1, 2, v7
	s_wait_loadcnt 0xe
	ds_store_b32 v3, v47
	v_dual_lshlrev_b32 v3, 2, v8 :: v_dual_lshlrev_b32 v7, 2, v9
	v_mul_lo_u32 v8, 0x90, v26
	v_add3_u32 v1, 0, v2, v1
	v_lshlrev_b32_e32 v2, 2, v10
	s_delay_alu instid0(VALU_DEP_4)
	v_add3_u32 v3, 0, v4, v3
	v_add3_u32 v4, 0, v5, v7
	v_mul_lo_u32 v5, 0x90, v27
	v_dual_lshlrev_b32 v9, 2, v37 :: v_dual_lshlrev_b32 v7, 2, v14
	v_lshlrev_b32_e32 v10, 2, v48
	s_wait_loadcnt 0xd
	ds_store_b32 v1, v50
	v_add3_u32 v1, 0, v6, v2
	v_lshlrev_b32_e32 v2, 2, v11
	s_wait_loadcnt 0xc
	ds_store_b32 v3, v52
	s_wait_loadcnt 0xb
	ds_store_b32 v4, v40
	v_lshlrev_b32_e32 v3, 2, v12
	v_mul_lo_u32 v4, 0x90, v29
	s_wait_loadcnt 0xa
	ds_store_b32 v1, v41
	v_add3_u32 v1, 0, v8, v2
	v_mul_lo_u32 v2, 0x90, v28
	v_add3_u32 v3, 0, v5, v3
	v_mul_lo_u32 v5, 0x90, v30
	v_mul_lo_u32 v6, 0x90, v32
	s_wait_loadcnt 0x9
	ds_store_b32 v1, v53
	v_lshlrev_b32_e32 v1, 2, v13
	s_wait_loadcnt 0x8
	ds_store_b32 v3, v54
	v_lshlrev_b32_e32 v3, 2, v15
	v_lshlrev_b32_e32 v8, 2, v31
	v_add3_u32 v1, 0, v2, v1
	v_add3_u32 v2, 0, v4, v7
	v_or_b32_e32 v4, 0x80, v48
	v_add3_u32 v3, 0, v5, v3
	v_add3_u32 v5, 0, v6, v8
	v_mul_lo_u32 v6, 0x90, v34
	s_wait_loadcnt 0x7
	ds_store_b32 v1, v58
	v_mul_lo_u16 v1, v4, 57
	s_wait_loadcnt 0x6
	ds_store_b32 v2, v59
	s_wait_loadcnt 0x5
	ds_store_b32 v3, v60
	;; [unrolled: 2-line block ×3, first 2 shown]
	v_lshlrev_b32_e32 v2, 2, v33
	v_mul_lo_u32 v3, 0x90, v36
	v_mul_lo_u32 v5, 0x90, v39
	v_lshrrev_b16 v1, 11, v1
	v_mul_lo_u32 v7, 0x90, v42
	v_lshlrev_b32_e32 v8, 2, v35
	v_add3_u32 v6, 0, v6, v2
	s_delay_alu instid0(VALU_DEP_4) | instskip(SKIP_1) | instid1(VALU_DEP_4)
	v_mul_lo_u16 v2, v1, 36
	v_and_b32_e32 v1, 0xffff, v1
	v_add3_u32 v3, 0, v3, v8
	s_delay_alu instid0(VALU_DEP_3) | instskip(NEXT) | instid1(VALU_DEP_3)
	v_sub_nc_u16 v2, v4, v2
	v_add_nc_u32_e32 v1, v42, v1
	v_add3_u32 v4, 0, v5, v9
	v_add3_u32 v5, 0, v7, v10
	s_wait_loadcnt 0x3
	ds_store_b32 v6, v56
	s_wait_loadcnt 0x2
	ds_store_b32 v3, v57
	;; [unrolled: 2-line block ×4, first 2 shown]
	v_and_b32_e32 v2, 0xff, v2
	v_cmpx_gt_u32_e32 0x80, v1
	s_cbranch_execz .LBB15_2
; %bb.1:
	s_delay_alu instid0(VALU_DEP_2)
	v_mad_u32 v3, v1, s8, v2
	v_mul_lo_u32 v4, 0x90, v1
	v_lshlrev_b32_e32 v5, 2, v2
	global_load_b32 v3, v3, s[4:5] scale_offset
	v_add3_u32 v4, 0, v4, v5
	s_wait_loadcnt 0x0
	ds_store_b32 v4, v3
.LBB15_2:
	s_or_b32 exec_lo, exec_lo, s6
	s_delay_alu instid0(VALU_DEP_2) | instskip(SKIP_1) | instid1(VALU_DEP_1)
	v_or_b32_e32 v2, 0x80, v2
	s_mov_b32 s6, exec_lo
	v_mul_lo_u16 v3, v2, 57
	s_delay_alu instid0(VALU_DEP_1) | instskip(NEXT) | instid1(VALU_DEP_1)
	v_lshrrev_b16 v3, 11, v3
	v_mul_lo_u16 v4, v3, 36
	v_and_b32_e32 v3, 0xffff, v3
	s_delay_alu instid0(VALU_DEP_2) | instskip(NEXT) | instid1(VALU_DEP_2)
	v_sub_nc_u16 v2, v2, v4
	v_add_nc_u32_e32 v1, v1, v3
	s_delay_alu instid0(VALU_DEP_2) | instskip(NEXT) | instid1(VALU_DEP_2)
	v_and_b32_e32 v2, 0xff, v2
	v_cmpx_gt_u32_e32 0x80, v1
	s_cbranch_execz .LBB15_4
; %bb.3:
	s_delay_alu instid0(VALU_DEP_2)
	v_mad_u32 v3, v1, s8, v2
	v_mul_lo_u32 v4, 0x90, v1
	v_lshlrev_b32_e32 v5, 2, v2
	global_load_b32 v3, v3, s[4:5] scale_offset
	v_add3_u32 v4, 0, v4, v5
	s_wait_loadcnt 0x0
	ds_store_b32 v4, v3
.LBB15_4:
	s_or_b32 exec_lo, exec_lo, s6
	s_delay_alu instid0(VALU_DEP_2) | instskip(SKIP_1) | instid1(VALU_DEP_1)
	v_or_b32_e32 v2, 0x80, v2
	s_mov_b32 s6, exec_lo
	v_mul_lo_u16 v3, v2, 57
	s_delay_alu instid0(VALU_DEP_1) | instskip(NEXT) | instid1(VALU_DEP_1)
	v_lshrrev_b16 v3, 11, v3
	v_mul_lo_u16 v4, v3, 36
	v_and_b32_e32 v3, 0xffff, v3
	s_delay_alu instid0(VALU_DEP_2) | instskip(NEXT) | instid1(VALU_DEP_2)
	v_sub_nc_u16 v2, v2, v4
	v_add_nc_u32_e32 v1, v1, v3
	s_delay_alu instid0(VALU_DEP_2) | instskip(NEXT) | instid1(VALU_DEP_2)
	;; [unrolled: 26-line block ×8, first 2 shown]
	v_and_b32_e32 v2, 0xff, v2
	v_cmpx_gt_u32_e32 0x80, v1
	s_cbranch_execz .LBB15_18
; %bb.17:
	s_delay_alu instid0(VALU_DEP_2)
	v_mad_u32 v3, v1, s8, v2
	v_mul_lo_u32 v4, 0x90, v1
	v_lshlrev_b32_e32 v5, 2, v2
	global_load_b32 v3, v3, s[4:5] scale_offset
	v_add3_u32 v4, 0, v4, v5
	s_wait_loadcnt 0x0
	ds_store_b32 v4, v3
.LBB15_18:
	s_or_b32 exec_lo, exec_lo, s6
	s_delay_alu instid0(SALU_CYCLE_1)
	s_mov_b32 s6, exec_lo
	v_cmpx_gt_u32_e32 0x380, v0
	s_cbranch_execz .LBB15_39
; %bb.19:
	v_or_b32_e32 v2, 0x80, v2
	s_mov_b32 s9, exec_lo
	s_delay_alu instid0(VALU_DEP_1) | instskip(NEXT) | instid1(VALU_DEP_1)
	v_mul_lo_u16 v3, v2, 57
	v_lshrrev_b16 v3, 11, v3
	s_delay_alu instid0(VALU_DEP_1) | instskip(SKIP_1) | instid1(VALU_DEP_2)
	v_mul_lo_u16 v4, v3, 36
	v_and_b32_e32 v3, 0xffff, v3
	v_sub_nc_u16 v2, v2, v4
	s_delay_alu instid0(VALU_DEP_2) | instskip(NEXT) | instid1(VALU_DEP_2)
	v_add_nc_u32_e32 v1, v1, v3
	v_and_b32_e32 v2, 0xff, v2
	s_delay_alu instid0(VALU_DEP_2)
	v_cmpx_gt_u32_e32 0x80, v1
	s_cbranch_execz .LBB15_21
; %bb.20:
	s_delay_alu instid0(VALU_DEP_2)
	v_mad_u32 v3, v1, s8, v2
	v_mul_lo_u32 v4, 0x90, v1
	v_lshlrev_b32_e32 v5, 2, v2
	global_load_b32 v3, v3, s[4:5] scale_offset
	v_add3_u32 v4, 0, v4, v5
	s_wait_loadcnt 0x0
	ds_store_b32 v4, v3
.LBB15_21:
	s_or_b32 exec_lo, exec_lo, s9
	v_cmp_gt_u32_e32 vcc_lo, 0x300, v0
	s_and_b32 exec_lo, exec_lo, vcc_lo
	s_cbranch_execz .LBB15_39
; %bb.22:
	v_or_b32_e32 v2, 0x80, v2
	s_mov_b32 s9, exec_lo
	s_delay_alu instid0(VALU_DEP_1) | instskip(NEXT) | instid1(VALU_DEP_1)
	v_mul_lo_u16 v3, v2, 57
	v_lshrrev_b16 v3, 11, v3
	s_delay_alu instid0(VALU_DEP_1) | instskip(SKIP_1) | instid1(VALU_DEP_2)
	v_mul_lo_u16 v4, v3, 36
	v_and_b32_e32 v3, 0xffff, v3
	v_sub_nc_u16 v2, v2, v4
	s_delay_alu instid0(VALU_DEP_2) | instskip(NEXT) | instid1(VALU_DEP_2)
	v_add_nc_u32_e32 v1, v1, v3
	v_and_b32_e32 v2, 0xff, v2
	s_delay_alu instid0(VALU_DEP_2)
	v_cmpx_gt_u32_e32 0x80, v1
	s_cbranch_execz .LBB15_24
; %bb.23:
	s_delay_alu instid0(VALU_DEP_2)
	v_mad_u32 v3, v1, s8, v2
	v_mul_lo_u32 v4, 0x90, v1
	v_lshlrev_b32_e32 v5, 2, v2
	global_load_b32 v3, v3, s[4:5] scale_offset
	v_add3_u32 v4, 0, v4, v5
	s_wait_loadcnt 0x0
	ds_store_b32 v4, v3
.LBB15_24:
	s_or_b32 exec_lo, exec_lo, s9
	v_cmp_gt_u32_e32 vcc_lo, 0x280, v0
	s_and_b32 exec_lo, exec_lo, vcc_lo
	;; [unrolled: 30-line block ×6, first 2 shown]
	s_cbranch_execz .LBB15_39
; %bb.37:
	v_or_b32_e32 v2, 0x80, v2
	s_delay_alu instid0(VALU_DEP_1) | instskip(NEXT) | instid1(VALU_DEP_1)
	v_mul_lo_u16 v3, v2, 57
	v_lshrrev_b16 v3, 11, v3
	s_delay_alu instid0(VALU_DEP_1) | instskip(NEXT) | instid1(VALU_DEP_1)
	v_and_b32_e32 v4, 0xffff, v3
	v_add_nc_u32_e32 v1, v1, v4
	s_delay_alu instid0(VALU_DEP_1)
	v_cmp_gt_u32_e32 vcc_lo, 0x80, v1
	s_and_b32 exec_lo, exec_lo, vcc_lo
	s_cbranch_execz .LBB15_39
; %bb.38:
	v_mul_lo_u16 v3, v3, 36
	s_delay_alu instid0(VALU_DEP_1) | instskip(NEXT) | instid1(VALU_DEP_1)
	v_sub_nc_u16 v2, v2, v3
	v_and_b32_e32 v2, 0xff, v2
	s_delay_alu instid0(VALU_DEP_1)
	v_mad_u32 v3, v1, s8, v2
	v_mul_lo_u32 v1, 0x90, v1
	v_lshlrev_b32_e32 v2, 2, v2
	global_load_b32 v3, v3, s[4:5] scale_offset
	v_add3_u32 v1, 0, v1, v2
	s_wait_loadcnt 0x0
	ds_store_b32 v1, v3
.LBB15_39:
	s_or_b32 exec_lo, exec_lo, s6
	s_clause 0x1
	s_load_b128 s[8:11], s[0:1], 0x8
	s_load_b64 s[14:15], s[0:1], 0x28
	s_ashr_i32 s4, s7, 2
	s_ashr_i32 s5, s7, 31
	v_mul_lo_u32 v6, s4, v0
	s_mov_b32 s4, s7
	s_wait_dscnt 0x0
	s_mul_u64 s[4:5], s[2:3], s[4:5]
	s_barrier_signal -1
	s_barrier_wait -1
	s_delay_alu instid0(VALU_DEP_1) | instskip(SKIP_3) | instid1(VALU_DEP_1)
	v_ashrrev_i32_e32 v7, 31, v6
	s_wait_kmcnt 0x0
	s_add_nc_u64 s[4:5], s[8:9], s[4:5]
	s_cmp_eq_u64 s[10:11], 0
	v_lshl_add_u64 v[8:9], v[6:7], 2, s[4:5]
	s_clause 0x1
	global_load_b32 v7, v6, s[4:5] offset:16 scale_offset
	global_load_b128 v[2:5], v[8:9], off
	s_cbranch_scc1 .LBB15_41
; %bb.40:
	s_wait_xcnt 0x1
	s_lshl_b64 s[4:5], s[2:3], 2
	s_delay_alu instid0(SALU_CYCLE_1)
	s_add_nc_u64 s[4:5], s[10:11], s[4:5]
	global_load_b32 v8, v0, s[4:5] scale_offset
	s_branch .LBB15_42
.LBB15_41:
	s_wait_xcnt 0x0
	v_mov_b32_e32 v8, 0
.LBB15_42:
	s_wait_xcnt 0x0
	s_load_b64 s[4:5], s[0:1], 0x40
	s_wait_kmcnt 0x0
	s_sub_nc_u64 s[4:5], s[4:5], s[12:13]
	s_delay_alu instid0(SALU_CYCLE_1)
	v_cmp_lt_i64_e64 s6, s[4:5], 1
	s_and_b32 vcc_lo, exec_lo, s6
	s_cbranch_vccnz .LBB15_50
; %bb.43:
	v_min_u64 v[12:13], s[4:5], 32
	s_load_b96 s[8:10], s[0:1], 0x30
	s_wait_loadcnt 0x0
	v_dual_mov_b32 v10, v3 :: v_dual_mov_b32 v11, v4
	v_dual_mov_b32 v6, v5 :: v_dual_mov_b32 v1, 0
	v_mul_u32_u24_e32 v24, 0x90, v0
	v_lshlrev_b32_e32 v0, 2, v0
	s_wait_kmcnt 0x0
	s_mul_i32 s10, s10, s16
	s_ashr_i32 s7, s9, 31
	s_ashr_i32 s17, s8, 31
	s_ashr_i32 s0, s9, 2
	s_ashr_i32 s11, s10, 31
	s_cmp_eq_u64 s[4:5], 1
	s_mov_b32 s6, s9
	s_cselect_b32 s1, -1, 0
	s_cmp_lg_u32 s0, 1
	s_mov_b32 s16, s8
	s_cselect_b32 s8, -1, 0
	s_mul_u64 s[4:5], s[12:13], s[6:7]
	s_mul_u64 s[6:7], s[2:3], s[16:17]
	v_readfirstlane_b32 s2, v12
	v_readfirstlane_b32 s3, v13
	s_or_b32 s1, s1, s8
	s_add_nc_u64 s[8:9], s[14:15], s[10:11]
	s_and_b32 vcc_lo, exec_lo, s1
	s_cbranch_vccnz .LBB15_47
; %bb.44:
	v_dual_mov_b32 v16, v2 :: v_dual_add_nc_u32 v25, 0, v24
	s_add_nc_u64 s[10:11], s[8:9], s[4:5]
	v_dual_mov_b32 v17, v2 :: v_dual_mov_b32 v18, v10
	ds_load_2addr_b32 v[12:13], v25 offset1:1
	s_add_nc_u64 s[10:11], s[10:11], s[6:7]
	v_dual_mov_b32 v19, v3 :: v_dual_mov_b32 v20, v4
	v_add_nc_u64_e32 v[14:15], s[10:11], v[0:1]
	v_dual_mov_b32 v21, v11 :: v_dual_mov_b32 v4, v6
	v_dual_mov_b32 v22, v7 :: v_dual_mov_b32 v23, v7
	v_mov_b32_e32 v9, v8
	s_and_b64 s[10:11], s[2:3], 62
	s_delay_alu instid0(SALU_CYCLE_1)
	s_mov_b64 s[12:13], s[10:11]
.LBB15_45:                              ; =>This Inner Loop Header: Depth=1
	ds_load_2addr_b32 v[26:27], v25 offset0:1 offset1:2
	s_wait_dscnt 0x1
	v_pk_fma_f32 v[28:29], v[16:17], v[12:13], 0 op_sel_hi:[1,1,0]
	ds_load_2addr_b32 v[12:13], v25 offset0:2 offset1:3
	ds_load_2addr_b32 v[30:31], v25 offset0:3 offset1:4
	;; [unrolled: 1-line block ×3, first 2 shown]
	v_add_nc_u32_e32 v25, 8, v25
	s_add_nc_u64 s[12:13], s[12:13], -2
	s_delay_alu instid0(SALU_CYCLE_1) | instskip(SKIP_3) | instid1(VALU_DEP_1)
	s_cmp_lg_u64 s[12:13], 0
	s_wait_dscnt 0x3
	v_pk_fma_f32 v[26:27], v[18:19], v[26:27], v[28:29]
	s_wait_dscnt 0x2
	v_pk_fma_f32 v[26:27], v[20:21], v[12:13], v[26:27]
	s_wait_dscnt 0x1
	s_delay_alu instid0(VALU_DEP_1) | instskip(SKIP_1) | instid1(VALU_DEP_1)
	v_pk_fma_f32 v[26:27], v[4:5], v[30:31], v[26:27]
	s_wait_dscnt 0x0
	v_pk_fma_f32 v[26:27], v[22:23], v[32:33], v[26:27]
	s_delay_alu instid0(VALU_DEP_1)
	v_pk_add_f32 v[26:27], v[8:9], v[26:27]
	global_store_b64 v[14:15], v[26:27], off
	s_wait_xcnt 0x0
	v_add_nc_u64_e32 v[14:15], 8, v[14:15]
	s_cbranch_scc1 .LBB15_45
; %bb.46:
	s_cmp_lg_u64 s[2:3], s[10:11]
	s_cselect_b32 s1, -1, 0
	s_delay_alu instid0(SALU_CYCLE_1)
	s_and_b32 vcc_lo, exec_lo, s1
	s_cbranch_vccnz .LBB15_48
	s_branch .LBB15_50
.LBB15_47:
	s_mov_b64 s[10:11], 0
	s_cbranch_execz .LBB15_50
.LBB15_48:
	s_lshl_b32 s1, s10, 2
	s_add_nc_u64 s[4:5], s[6:7], s[4:5]
	v_add3_u32 v3, 0, s1, v24
	s_ashr_i32 s1, s0, 31
	v_mov_b32_e32 v1, 0
	s_mul_u64 s[12:13], s[10:11], s[0:1]
	s_sub_nc_u64 s[2:3], s[2:3], s[10:11]
	ds_load_b32 v4, v3
	s_lshl_b64 s[6:7], s[12:13], 2
	s_lshl_b64 s[0:1], s[0:1], 2
	s_add_nc_u64 s[4:5], s[4:5], s[6:7]
	s_delay_alu instid0(SALU_CYCLE_1) | instskip(NEXT) | instid1(SALU_CYCLE_1)
	s_add_nc_u64 s[4:5], s[8:9], s[4:5]
	v_add_nc_u64_e32 v[0:1], s[4:5], v[0:1]
.LBB15_49:                              ; =>This Inner Loop Header: Depth=1
	s_wait_dscnt 0x0
	v_fma_f32 v9, v2, v4, 0
	ds_load_2addr_b32 v[4:5], v3 offset0:1 offset1:2
	ds_load_2addr_b32 v[12:13], v3 offset0:3 offset1:4
	s_add_nc_u64 s[2:3], s[2:3], -1
	v_add_nc_u32_e32 v3, 4, v3
	s_cmp_lg_u64 s[2:3], 0
	s_wait_dscnt 0x1
	v_pk_mul_f32 v[14:15], v[10:11], v[4:5]
	s_wait_dscnt 0x0
	v_pk_mul_f32 v[12:13], v[6:7], v[12:13]
	s_delay_alu instid0(VALU_DEP_2) | instskip(NEXT) | instid1(VALU_DEP_1)
	v_add_f32_e32 v5, v9, v14
	v_add_f32_e32 v5, v5, v15
	s_delay_alu instid0(VALU_DEP_1) | instskip(NEXT) | instid1(VALU_DEP_1)
	v_add_f32_e32 v5, v5, v12
	v_add_f32_e32 v5, v5, v13
	s_delay_alu instid0(VALU_DEP_1)
	v_add_f32_e32 v5, v8, v5
	global_store_b32 v[0:1], v5, off
	s_wait_xcnt 0x0
	v_add_nc_u64_e32 v[0:1], s[0:1], v[0:1]
	s_cbranch_scc1 .LBB15_49
.LBB15_50:
	s_endpgm
	.section	.rodata,"a",@progbits
	.p2align	6, 0x0
	.amdhsa_kernel _ZL23ssm_conv_long_token_f32ILb0ELm128ELm5ELl32EEvPKfS1_S1_iiiiPfiiil
		.amdhsa_group_segment_fixed_size 0
		.amdhsa_private_segment_fixed_size 0
		.amdhsa_kernarg_size 72
		.amdhsa_user_sgpr_count 2
		.amdhsa_user_sgpr_dispatch_ptr 0
		.amdhsa_user_sgpr_queue_ptr 0
		.amdhsa_user_sgpr_kernarg_segment_ptr 1
		.amdhsa_user_sgpr_dispatch_id 0
		.amdhsa_user_sgpr_kernarg_preload_length 0
		.amdhsa_user_sgpr_kernarg_preload_offset 0
		.amdhsa_user_sgpr_private_segment_size 0
		.amdhsa_wavefront_size32 1
		.amdhsa_uses_dynamic_stack 0
		.amdhsa_enable_private_segment 0
		.amdhsa_system_sgpr_workgroup_id_x 1
		.amdhsa_system_sgpr_workgroup_id_y 1
		.amdhsa_system_sgpr_workgroup_id_z 1
		.amdhsa_system_sgpr_workgroup_info 0
		.amdhsa_system_vgpr_workitem_id 0
		.amdhsa_next_free_vgpr 64
		.amdhsa_next_free_sgpr 20
		.amdhsa_named_barrier_count 0
		.amdhsa_reserve_vcc 1
		.amdhsa_float_round_mode_32 0
		.amdhsa_float_round_mode_16_64 0
		.amdhsa_float_denorm_mode_32 3
		.amdhsa_float_denorm_mode_16_64 3
		.amdhsa_fp16_overflow 0
		.amdhsa_memory_ordered 1
		.amdhsa_forward_progress 1
		.amdhsa_inst_pref_size 49
		.amdhsa_round_robin_scheduling 0
		.amdhsa_exception_fp_ieee_invalid_op 0
		.amdhsa_exception_fp_denorm_src 0
		.amdhsa_exception_fp_ieee_div_zero 0
		.amdhsa_exception_fp_ieee_overflow 0
		.amdhsa_exception_fp_ieee_underflow 0
		.amdhsa_exception_fp_ieee_inexact 0
		.amdhsa_exception_int_div_zero 0
	.end_amdhsa_kernel
	.section	.text._ZL23ssm_conv_long_token_f32ILb0ELm128ELm5ELl32EEvPKfS1_S1_iiiiPfiiil,"axG",@progbits,_ZL23ssm_conv_long_token_f32ILb0ELm128ELm5ELl32EEvPKfS1_S1_iiiiPfiiil,comdat
.Lfunc_end15:
	.size	_ZL23ssm_conv_long_token_f32ILb0ELm128ELm5ELl32EEvPKfS1_S1_iiiiPfiiil, .Lfunc_end15-_ZL23ssm_conv_long_token_f32ILb0ELm128ELm5ELl32EEvPKfS1_S1_iiiiPfiiil
                                        ; -- End function
	.set _ZL23ssm_conv_long_token_f32ILb0ELm128ELm5ELl32EEvPKfS1_S1_iiiiPfiiil.num_vgpr, 64
	.set _ZL23ssm_conv_long_token_f32ILb0ELm128ELm5ELl32EEvPKfS1_S1_iiiiPfiiil.num_agpr, 0
	.set _ZL23ssm_conv_long_token_f32ILb0ELm128ELm5ELl32EEvPKfS1_S1_iiiiPfiiil.numbered_sgpr, 20
	.set _ZL23ssm_conv_long_token_f32ILb0ELm128ELm5ELl32EEvPKfS1_S1_iiiiPfiiil.num_named_barrier, 0
	.set _ZL23ssm_conv_long_token_f32ILb0ELm128ELm5ELl32EEvPKfS1_S1_iiiiPfiiil.private_seg_size, 0
	.set _ZL23ssm_conv_long_token_f32ILb0ELm128ELm5ELl32EEvPKfS1_S1_iiiiPfiiil.uses_vcc, 1
	.set _ZL23ssm_conv_long_token_f32ILb0ELm128ELm5ELl32EEvPKfS1_S1_iiiiPfiiil.uses_flat_scratch, 0
	.set _ZL23ssm_conv_long_token_f32ILb0ELm128ELm5ELl32EEvPKfS1_S1_iiiiPfiiil.has_dyn_sized_stack, 0
	.set _ZL23ssm_conv_long_token_f32ILb0ELm128ELm5ELl32EEvPKfS1_S1_iiiiPfiiil.has_recursion, 0
	.set _ZL23ssm_conv_long_token_f32ILb0ELm128ELm5ELl32EEvPKfS1_S1_iiiiPfiiil.has_indirect_call, 0
	.section	.AMDGPU.csdata,"",@progbits
; Kernel info:
; codeLenInByte = 6172
; TotalNumSgprs: 22
; NumVgprs: 64
; ScratchSize: 0
; MemoryBound: 0
; FloatMode: 240
; IeeeMode: 1
; LDSByteSize: 0 bytes/workgroup (compile time only)
; SGPRBlocks: 0
; VGPRBlocks: 3
; NumSGPRsForWavesPerEU: 22
; NumVGPRsForWavesPerEU: 64
; NamedBarCnt: 0
; Occupancy: 16
; WaveLimiterHint : 0
; COMPUTE_PGM_RSRC2:SCRATCH_EN: 0
; COMPUTE_PGM_RSRC2:USER_SGPR: 2
; COMPUTE_PGM_RSRC2:TRAP_HANDLER: 0
; COMPUTE_PGM_RSRC2:TGID_X_EN: 1
; COMPUTE_PGM_RSRC2:TGID_Y_EN: 1
; COMPUTE_PGM_RSRC2:TGID_Z_EN: 1
; COMPUTE_PGM_RSRC2:TIDIG_COMP_CNT: 0
	.section	.text._ZL12ssm_conv_f32ILb0ELm128ELm9EEvPKfS1_S1_iiiiPfiiil,"axG",@progbits,_ZL12ssm_conv_f32ILb0ELm128ELm9EEvPKfS1_S1_iiiiPfiiil,comdat
	.globl	_ZL12ssm_conv_f32ILb0ELm128ELm9EEvPKfS1_S1_iiiiPfiiil ; -- Begin function _ZL12ssm_conv_f32ILb0ELm128ELm9EEvPKfS1_S1_iiiiPfiiil
	.p2align	8
	.type	_ZL12ssm_conv_f32ILb0ELm128ELm9EEvPKfS1_S1_iiiiPfiiil,@function
_ZL12ssm_conv_f32ILb0ELm128ELm9EEvPKfS1_S1_iiiiPfiiil: ; @_ZL12ssm_conv_f32ILb0ELm128ELm9EEvPKfS1_S1_iiiiPfiiil
; %bb.0:
	s_load_b64 s[2:3], s[0:1], 0x10
	s_bfe_u32 s4, ttmp6, 0x40010
	s_bfe_u32 s5, ttmp6, 0x40004
	s_add_co_i32 s4, s4, 1
	s_getreg_b32 s11, hwreg(HW_REG_IB_STS2, 6, 4)
	s_mul_i32 s4, ttmp7, s4
	s_delay_alu instid0(SALU_CYCLE_1) | instskip(SKIP_2) | instid1(SALU_CYCLE_1)
	s_add_co_i32 s5, s5, s4
	s_cmp_eq_u32 s11, 0
	s_cselect_b32 s4, ttmp7, s5
	s_ashr_i32 s5, s4, 31
	s_delay_alu instid0(SALU_CYCLE_1)
	s_lshl_b64 s[12:13], s[4:5], 7
	s_wait_kmcnt 0x0
	s_cmp_eq_u64 s[2:3], 0
	s_cbranch_scc1 .LBB16_2
; %bb.1:
	s_lshl_b64 s[4:5], s[12:13], 2
	s_delay_alu instid0(SALU_CYCLE_1)
	s_add_nc_u64 s[2:3], s[2:3], s[4:5]
	global_load_b32 v11, v0, s[2:3] scale_offset
	s_wait_xcnt 0x0
	s_load_b64 s[2:3], s[0:1], 0x40
	s_wait_kmcnt 0x0
	v_cmp_lt_i64_e64 s4, s[2:3], 1
	s_and_b32 vcc_lo, exec_lo, s4
	s_cbranch_vccz .LBB16_3
	s_branch .LBB16_6
.LBB16_2:
	v_mov_b32_e32 v11, 0
	s_load_b64 s[2:3], s[0:1], 0x40
	s_wait_kmcnt 0x0
	v_cmp_lt_i64_e64 s4, s[2:3], 1
	s_and_b32 vcc_lo, exec_lo, s4
	s_cbranch_vccnz .LBB16_6
.LBB16_3:
	s_clause 0x1
	s_load_b96 s[8:10], s[0:1], 0x1c
	s_load_b128 s[4:7], s[0:1], 0x0
	s_bfe_u32 s14, ttmp6, 0x4000c
	s_and_b32 s15, ttmp6, 15
	s_add_co_i32 s14, s14, 1
	s_delay_alu instid0(SALU_CYCLE_1) | instskip(NEXT) | instid1(SALU_CYCLE_1)
	s_mul_i32 s14, ttmp9, s14
	s_add_co_i32 s14, s15, s14
	s_wait_kmcnt 0x0
	s_ashr_i32 s15, s10, 31
	s_ashr_i32 s16, s10, 2
	s_cmp_eq_u32 s11, 0
	v_mul_lo_u32 v16, s16, v0
	s_cselect_b32 s16, ttmp9, s14
	s_ashr_i32 s11, s8, 2
	s_mov_b32 s14, s10
	v_mul_lo_u32 v18, s11, v0
	s_mul_u64 s[10:11], s[12:13], s[14:15]
	s_mul_i32 s14, s9, s16
	s_ashr_i32 s9, s8, 31
	s_ashr_i32 s15, s14, 31
	s_mul_u64 s[8:9], s[12:13], s[8:9]
	s_add_nc_u64 s[4:5], s[4:5], s[14:15]
	v_ashrrev_i32_e32 v17, 31, v16
	s_add_nc_u64 s[6:7], s[6:7], s[10:11]
	s_add_nc_u64 s[4:5], s[4:5], s[8:9]
	s_delay_alu instid0(VALU_DEP_2) | instskip(NEXT) | instid1(VALU_DEP_2)
	v_ashrrev_i32_e32 v19, 31, v18
	v_lshl_add_u64 v[20:21], v[16:17], 2, s[6:7]
	s_delay_alu instid0(VALU_DEP_2)
	v_lshl_add_u64 v[22:23], v[18:19], 2, s[4:5]
	global_load_b128 v[12:15], v[20:21], off
	global_load_b128 v[2:5], v[22:23], off
	global_load_b128 v[24:27], v[20:21], off offset:16
	s_clause 0x1
	global_load_b128 v[6:9], v[22:23], off offset:16
	global_load_b32 v10, v18, s[4:5] offset:32 scale_offset
	global_load_b32 v17, v16, s[6:7] offset:32 scale_offset
	s_wait_xcnt 0x0
	s_load_b96 s[4:6], s[0:1], 0x30
	s_wait_kmcnt 0x0
	s_mul_i32 s6, s6, s16
	s_load_b64 s[0:1], s[0:1], 0x28
	s_ashr_i32 s7, s6, 31
	s_ashr_i32 s11, s4, 31
	s_mov_b32 s10, s4
	s_cmp_eq_u64 s[2:3], 1
	s_wait_kmcnt 0x0
	s_add_nc_u64 s[8:9], s[0:1], s[6:7]
	s_mul_u64 s[6:7], s[12:13], s[10:11]
	s_mov_b32 s1, 0
	s_add_nc_u64 s[10:11], s[8:9], s[6:7]
	s_wait_loadcnt 0x5
	v_dual_mov_b32 v18, v13 :: v_dual_mov_b32 v19, v14
	s_wait_loadcnt 0x4
	v_dual_mov_b32 v20, v3 :: v_dual_mov_b32 v21, v4
	v_fma_f32 v1, v12, v2, 0
	s_wait_loadcnt 0x3
	v_dual_mov_b32 v14, v15 :: v_dual_mov_b32 v15, v24
	s_wait_loadcnt 0x2
	v_dual_mov_b32 v28, v5 :: v_dual_mov_b32 v29, v6
	v_pk_mul_f32 v[20:21], v[18:19], v[20:21]
	v_dual_mov_b32 v24, v7 :: v_dual_mov_b32 v16, v27
	s_delay_alu instid0(VALU_DEP_3) | instskip(NEXT) | instid1(VALU_DEP_3)
	v_pk_mul_f32 v[28:29], v[14:15], v[28:29]
	v_add_f32_e32 v1, v1, v20
	v_dual_mov_b32 v20, v25 :: v_dual_mov_b32 v25, v8
	s_delay_alu instid0(VALU_DEP_2) | instskip(NEXT) | instid1(VALU_DEP_1)
	v_dual_add_f32 v1, v1, v21 :: v_dual_mov_b32 v21, v26
	v_add_f32_e32 v1, v1, v28
	s_delay_alu instid0(VALU_DEP_2) | instskip(SKIP_2) | instid1(VALU_DEP_3)
	v_pk_mul_f32 v[24:25], v[20:21], v[24:25]
	v_mov_b32_e32 v28, v9
	s_wait_loadcnt 0x1
	v_dual_add_f32 v1, v1, v29 :: v_dual_mov_b32 v29, v10
	s_delay_alu instid0(VALU_DEP_1) | instskip(NEXT) | instid1(VALU_DEP_1)
	v_add_f32_e32 v1, v1, v24
	v_add_f32_e32 v1, v1, v25
	s_wait_loadcnt 0x0
	s_delay_alu instid0(VALU_DEP_3) | instskip(NEXT) | instid1(VALU_DEP_1)
	v_pk_mul_f32 v[24:25], v[16:17], v[28:29]
	v_add_f32_e32 v1, v1, v24
	s_delay_alu instid0(VALU_DEP_1) | instskip(NEXT) | instid1(VALU_DEP_1)
	v_add_f32_e32 v1, v1, v25
	v_dual_add_f32 v13, v11, v1 :: v_dual_mov_b32 v1, 0
	global_store_b32 v0, v13, s[10:11] scale_offset
	s_cbranch_scc1 .LBB16_6
; %bb.4:
	s_ashr_i32 s4, s5, 2
	s_wait_xcnt 0x0
	v_lshlrev_b32_e32 v0, 2, v0
	s_ashr_i32 s5, s4, 31
	v_add_nc_u64_e32 v[22:23], 36, v[22:23]
	s_lshl_b64 s[4:5], s[4:5], 2
	s_add_nc_u64 s[2:3], s[2:3], -1
	s_add_nc_u64 s[10:11], s[6:7], s[4:5]
	s_mov_b64 s[6:7], 1
	s_add_nc_u64 s[10:11], s[8:9], s[10:11]
	s_mov_b64 s[8:9], 0
	v_add_nc_u64_e32 v[0:1], s[10:11], v[0:1]
	s_mov_b64 s[10:11], 9
	s_mov_b64 s[12:13], 8
	;; [unrolled: 1-line block ×11, first 2 shown]
.LBB16_5:                               ; =>This Inner Loop Header: Depth=1
	global_load_b32 v13, v[22:23], off
	s_and_b64 s[42:43], s[6:7], s[18:19]
	s_mov_b32 s52, s10
	s_mov_b32 s53, s1
	;; [unrolled: 1-line block ×4, first 2 shown]
	s_mul_u64 s[98:99], s[42:43], s[16:17]
	s_mov_b32 s78, s14
	s_mov_b32 s79, s1
	;; [unrolled: 1-line block ×4, first 2 shown]
	s_mul_u64 s[100:101], s[52:53], s[16:17]
	s_mov_b32 s40, s99
	s_mul_u64 s[98:99], s[74:75], s[16:17]
	s_mov_b32 s86, s24
	s_mov_b32 s87, s1
	;; [unrolled: 1-line block ×5, first 2 shown]
	s_mul_u64 s[100:101], s[78:79], s[16:17]
	s_mov_b32 s76, s99
	s_mul_u64 s[98:99], s[82:83], s[16:17]
	s_mov_b32 s0, s7
	s_mov_b32 s94, s28
	;; [unrolled: 1-line block ×4, first 2 shown]
	s_mul_u64 s[100:101], s[86:87], s[16:17]
	s_mov_b32 s84, s99
	s_mul_u64 s[98:99], s[90:91], s[16:17]
	s_mov_b32 s41, s1
	;; [unrolled: 2-line block ×5, first 2 shown]
	s_mov_b32 s63, s1
	s_mov_b32 s68, s99
	s_mul_u64 s[98:99], s[0:1], s[16:17]
	s_add_nc_u64 s[96:97], s[96:97], s[40:41]
	s_mul_u64 s[102:103], s[0:1], s[20:21]
	s_mov_b32 s0, s13
	s_add_nc_u64 s[62:63], s[98:99], s[62:63]
	s_mul_u64 s[42:43], s[42:43], s[20:21]
	s_mov_b32 s44, s97
	s_mov_b32 s97, s1
	s_mul_u64 s[40:41], s[0:1], s[16:17]
	s_mul_u64 s[52:53], s[52:53], s[20:21]
	s_add_nc_u64 s[42:43], s[42:43], s[96:97]
	s_mul_u64 s[96:97], s[0:1], s[20:21]
	s_mov_b32 s0, s15
	s_mov_b32 s64, s63
	;; [unrolled: 1-line block ×4, first 2 shown]
	s_add_nc_u64 s[52:53], s[52:53], s[62:63]
	s_mul_u64 s[62:63], s[0:1], s[16:17]
	s_mov_b32 s77, s1
	s_add_nc_u64 s[62:63], s[62:63], s[80:81]
	s_mov_b32 s80, s30
	s_add_nc_u64 s[76:77], s[40:41], s[76:77]
	s_mov_b32 s46, s43
	s_mul_u64 s[42:43], s[80:81], s[16:17]
	s_mov_b32 s66, s77
	s_mov_b32 s98, s43
	s_mul_u64 s[42:43], s[74:75], s[20:21]
	s_mul_u64 s[74:75], s[0:1], s[20:21]
	s_mov_b32 s0, s23
	s_mov_b32 s77, s1
	;; [unrolled: 1-line block ×4, first 2 shown]
	s_add_nc_u64 s[52:53], s[42:43], s[76:77]
	s_mul_u64 s[42:43], s[0:1], s[16:17]
	s_mov_b32 s65, s1
	s_mov_b32 s73, s1
	s_add_nc_u64 s[76:77], s[42:43], s[84:85]
	s_mul_u64 s[84:85], s[0:1], s[20:21]
	s_mov_b32 s0, s25
	s_mov_b32 s89, s1
	s_add_nc_u64 s[64:65], s[64:65], s[72:73]
	s_mov_b32 s72, s8
	s_mul_u64 s[78:79], s[78:79], s[20:21]
	s_mov_b32 s70, s53
	s_mov_b32 s58, s63
	;; [unrolled: 1-line block ×3, first 2 shown]
	s_mul_u64 s[52:53], s[0:1], s[16:17]
	s_mov_b32 s67, s1
	s_mov_b32 s71, s1
	s_add_nc_u64 s[78:79], s[78:79], s[62:63]
	s_add_nc_u64 s[88:89], s[52:53], s[88:89]
	s_mul_u64 s[52:53], s[72:73], s[16:17]
	s_mul_u64 s[62:63], s[72:73], s[20:21]
	;; [unrolled: 1-line block ×3, first 2 shown]
	s_mov_b32 s0, s27
	s_mov_b32 s93, s1
	s_mul_u64 s[82:83], s[82:83], s[20:21]
	s_add_nc_u64 s[70:71], s[66:67], s[70:71]
	s_mov_b32 s54, s77
	s_mov_b32 s77, s1
	;; [unrolled: 1-line block ×3, first 2 shown]
	s_mul_u64 s[78:79], s[0:1], s[16:17]
	s_mul_u64 s[66:67], s[0:1], s[20:21]
	s_mov_b32 s0, s29
	s_mov_b32 s59, s1
	;; [unrolled: 1-line block ×4, first 2 shown]
	s_add_nc_u64 s[102:103], s[102:103], s[64:65]
	s_mul_u64 s[86:87], s[86:87], s[20:21]
	s_mul_u64 s[64:65], s[80:81], s[20:21]
	s_add_nc_u64 s[76:77], s[82:83], s[76:77]
	s_mov_b32 s48, s89
	s_mov_b32 s89, s1
	s_add_nc_u64 s[78:79], s[78:79], s[92:93]
	s_mul_u64 s[80:81], s[0:1], s[16:17]
	s_add_nc_u64 s[82:83], s[96:97], s[70:71]
	s_mul_u64 s[70:71], s[0:1], s[20:21]
	s_mov_b32 s0, s31
	s_mov_b32 s55, s1
	;; [unrolled: 1-line block ×4, first 2 shown]
	s_mul_u64 s[90:91], s[90:91], s[20:21]
	s_add_nc_u64 s[58:59], s[58:59], s[60:61]
	s_mov_b32 s56, s77
	s_add_nc_u64 s[60:61], s[86:87], s[88:89]
	s_mov_b32 s36, s79
	s_mov_b32 s79, s1
	s_add_nc_u64 s[68:69], s[80:81], s[68:69]
	s_mul_u64 s[76:77], s[0:1], s[16:17]
	s_mul_u64 s[80:81], s[0:1], s[20:21]
	s_mov_b32 s0, s9
	s_mov_b32 s45, s1
	;; [unrolled: 1-line block ×5, first 2 shown]
	s_mov_b32 vcc_lo, s53
	s_mov_b32 vcc_hi, s1
	s_mul_u64 s[94:95], s[94:95], s[20:21]
	s_lshr_b64 s[96:97], s[102:103], 3
	s_add_nc_u64 s[58:59], s[74:75], s[58:59]
	s_add_nc_u64 s[54:55], s[54:55], s[56:57]
	s_mov_b32 s50, s61
	s_add_nc_u64 s[56:57], s[90:91], s[78:79]
	s_mov_b32 s34, s69
	s_mov_b32 s69, s1
	s_add_nc_u64 s[60:61], s[76:77], s[98:99]
	s_mul_u64 s[74:75], s[0:1], s[16:17]
	s_mov_b32 s37, s1
	s_mov_b32 s39, s1
	s_add_nc_u64 s[46:47], s[44:45], s[46:47]
	s_mul_i32 s40, s96, 9
	s_add_nc_u64 s[48:49], s[48:49], s[50:51]
	s_mov_b32 s38, s57
	s_add_nc_u64 s[50:51], s[94:95], s[68:69]
	s_mov_b32 s42, s61
	s_mov_b32 s61, s1
	s_add_nc_u64 s[56:57], s[74:75], vcc
	s_mov_b32 s35, s1
	s_mov_b32 s41, s1
	s_add_nc_u64 s[100:101], s[100:101], s[46:47]
	s_lshr_b64 s[58:59], s[58:59], 3
	s_sub_co_i32 s50, s8, s40
	s_add_nc_u64 s[36:37], s[36:37], s[38:39]
	s_mov_b32 s40, s51
	s_add_nc_u64 s[38:39], s[64:65], s[60:61]
	s_mov_b32 s46, s57
	s_mov_b32 s57, s1
	s_add_nc_u64 s[48:49], s[72:73], s[48:49]
	s_mov_b32 s43, s1
	s_mul_i32 s52, s58, 9
	s_add_nc_u64 s[36:37], s[66:67], s[36:37]
	s_add_nc_u64 s[34:35], s[34:35], s[40:41]
	s_mov_b32 s44, s39
	s_add_nc_u64 s[38:39], s[62:63], s[56:57]
	s_lshr_b64 s[48:49], s[48:49], 3
	s_mov_b32 s47, s1
	s_mov_b32 s53, s1
	s_sub_co_i32 s49, s8, s52
	s_lshr_b64 s[36:37], s[36:37], 3
	s_add_nc_u64 s[34:35], s[70:71], s[34:35]
	s_add_nc_u64 s[40:41], s[42:43], s[44:45]
	s_mov_b32 s52, s39
	s_mul_u64 s[76:77], s[0:1], s[20:21]
	s_mul_i32 s43, s36, 9
	s_lshr_b64 s[34:35], s[34:35], 3
	s_add_nc_u64 s[36:37], s[80:81], s[40:41]
	s_add_nc_u64 s[38:39], s[46:47], s[52:53]
	s_mul_i32 s41, s34, 9
	s_lshr_b64 s[34:35], s[36:37], 3
	s_add_nc_u64 s[36:37], s[76:77], s[38:39]
	s_lshr_b64 s[92:93], s[100:101], 3
	s_mul_i32 s39, s34, 9
	s_lshr_b64 s[34:35], s[36:37], 3
	s_mul_i32 s33, s92, 9
	s_mul_i32 s34, s34, -9
	s_sub_co_i32 s33, s8, s33
	s_add_co_i32 m0, s8, s34
	s_sub_co_i32 s36, s8, s39
	s_sub_co_i32 s35, s8, s41
	s_mul_i32 s48, s48, 9
	s_sub_co_i32 s38, s8, s43
	s_sub_co_i32 s40, s8, s48
	s_add_nc_u64 s[54:55], s[84:85], s[54:55]
	s_lshr_b64 s[82:83], s[82:83], 3
	s_lshr_b64 s[54:55], s[54:55], 3
	s_mul_i32 s0, s82, 9
	s_mul_i32 s51, s54, 9
	s_sub_co_i32 s0, s8, s0
	s_sub_co_i32 s42, s8, s51
	s_wait_xcnt 0x0
	v_add_nc_u64_e32 v[22:23], 4, v[22:23]
	s_add_nc_u64 s[8:9], s[8:9], 1
	s_add_nc_u64 s[6:7], s[6:7], 1
	s_add_nc_u64 s[10:11], s[10:11], 1
	s_add_nc_u64 s[12:13], s[12:13], 1
	s_add_nc_u64 s[14:15], s[14:15], 1
	s_add_nc_u64 s[22:23], s[22:23], 1
	s_add_nc_u64 s[24:25], s[24:25], 1
	s_add_nc_u64 s[26:27], s[26:27], 1
	s_add_nc_u64 s[28:29], s[28:29], 1
	s_add_nc_u64 s[30:31], s[30:31], 1
	s_wait_loadcnt 0x0
	v_movreld_b32_e32 v2, v13
	s_add_co_i32 m0, s33, 1
	v_movrels_b32_e32 v13, v2
	s_add_co_i32 m0, s36, 2
	v_movrels_b32_e32 v24, v2
	s_add_co_i32 m0, s35, 3
	s_delay_alu instid0(VALU_DEP_2) | instskip(SKIP_4) | instid1(VALU_DEP_2)
	v_fma_f32 v13, v12, v13, 0
	v_movrels_b32_e32 v25, v2
	s_add_co_i32 m0, s38, 4
	v_movrels_b32_e32 v26, v2
	s_add_co_i32 m0, s40, 5
	v_pk_mul_f32 v[24:25], v[18:19], v[24:25]
	v_movrels_b32_e32 v27, v2
	s_add_co_i32 m0, s42, 6
	s_delay_alu instid0(VALU_DEP_2) | instskip(NEXT) | instid1(VALU_DEP_2)
	v_add_f32_e32 v13, v13, v24
	v_pk_mul_f32 v[26:27], v[14:15], v[26:27]
	v_movrels_b32_e32 v24, v2
	s_add_co_i32 m0, s49, 7
	s_delay_alu instid0(VALU_DEP_3) | instskip(SKIP_2) | instid1(VALU_DEP_2)
	v_add_f32_e32 v13, v13, v25
	v_movrels_b32_e32 v25, v2
	s_add_co_i32 m0, s0, 8
	v_add_f32_e32 v13, v13, v26
	s_delay_alu instid0(VALU_DEP_2)
	v_pk_mul_f32 v[24:25], v[20:21], v[24:25]
	v_movrels_b32_e32 v26, v2
	s_add_co_i32 m0, s50, 9
	s_cmp_eq_u64 s[2:3], s[8:9]
	v_add_f32_e32 v13, v13, v27
	v_movrels_b32_e32 v27, v2
	s_delay_alu instid0(VALU_DEP_2) | instskip(NEXT) | instid1(VALU_DEP_2)
	v_add_f32_e32 v13, v13, v24
	v_pk_mul_f32 v[26:27], v[16:17], v[26:27]
	s_delay_alu instid0(VALU_DEP_2) | instskip(NEXT) | instid1(VALU_DEP_1)
	v_add_f32_e32 v13, v13, v25
	v_add_f32_e32 v13, v13, v26
	s_delay_alu instid0(VALU_DEP_1) | instskip(NEXT) | instid1(VALU_DEP_1)
	v_add_f32_e32 v13, v13, v27
	v_add_f32_e32 v13, v11, v13
	global_store_b32 v[0:1], v13, off
	s_wait_xcnt 0x0
	v_add_nc_u64_e32 v[0:1], s[4:5], v[0:1]
	s_cbranch_scc0 .LBB16_5
.LBB16_6:
	s_endpgm
	.section	.rodata,"a",@progbits
	.p2align	6, 0x0
	.amdhsa_kernel _ZL12ssm_conv_f32ILb0ELm128ELm9EEvPKfS1_S1_iiiiPfiiil
		.amdhsa_group_segment_fixed_size 0
		.amdhsa_private_segment_fixed_size 0
		.amdhsa_kernarg_size 72
		.amdhsa_user_sgpr_count 2
		.amdhsa_user_sgpr_dispatch_ptr 0
		.amdhsa_user_sgpr_queue_ptr 0
		.amdhsa_user_sgpr_kernarg_segment_ptr 1
		.amdhsa_user_sgpr_dispatch_id 0
		.amdhsa_user_sgpr_kernarg_preload_length 0
		.amdhsa_user_sgpr_kernarg_preload_offset 0
		.amdhsa_user_sgpr_private_segment_size 0
		.amdhsa_wavefront_size32 1
		.amdhsa_uses_dynamic_stack 0
		.amdhsa_enable_private_segment 0
		.amdhsa_system_sgpr_workgroup_id_x 1
		.amdhsa_system_sgpr_workgroup_id_y 1
		.amdhsa_system_sgpr_workgroup_id_z 0
		.amdhsa_system_sgpr_workgroup_info 0
		.amdhsa_system_vgpr_workitem_id 0
		.amdhsa_next_free_vgpr 30
		.amdhsa_next_free_sgpr 104
		.amdhsa_named_barrier_count 0
		.amdhsa_reserve_vcc 1
		.amdhsa_float_round_mode_32 0
		.amdhsa_float_round_mode_16_64 0
		.amdhsa_float_denorm_mode_32 3
		.amdhsa_float_denorm_mode_16_64 3
		.amdhsa_fp16_overflow 0
		.amdhsa_memory_ordered 1
		.amdhsa_forward_progress 1
		.amdhsa_inst_pref_size 15
		.amdhsa_round_robin_scheduling 0
		.amdhsa_exception_fp_ieee_invalid_op 0
		.amdhsa_exception_fp_denorm_src 0
		.amdhsa_exception_fp_ieee_div_zero 0
		.amdhsa_exception_fp_ieee_overflow 0
		.amdhsa_exception_fp_ieee_underflow 0
		.amdhsa_exception_fp_ieee_inexact 0
		.amdhsa_exception_int_div_zero 0
	.end_amdhsa_kernel
	.section	.text._ZL12ssm_conv_f32ILb0ELm128ELm9EEvPKfS1_S1_iiiiPfiiil,"axG",@progbits,_ZL12ssm_conv_f32ILb0ELm128ELm9EEvPKfS1_S1_iiiiPfiiil,comdat
.Lfunc_end16:
	.size	_ZL12ssm_conv_f32ILb0ELm128ELm9EEvPKfS1_S1_iiiiPfiiil, .Lfunc_end16-_ZL12ssm_conv_f32ILb0ELm128ELm9EEvPKfS1_S1_iiiiPfiiil
                                        ; -- End function
	.set _ZL12ssm_conv_f32ILb0ELm128ELm9EEvPKfS1_S1_iiiiPfiiil.num_vgpr, 30
	.set _ZL12ssm_conv_f32ILb0ELm128ELm9EEvPKfS1_S1_iiiiPfiiil.num_agpr, 0
	.set _ZL12ssm_conv_f32ILb0ELm128ELm9EEvPKfS1_S1_iiiiPfiiil.numbered_sgpr, 104
	.set _ZL12ssm_conv_f32ILb0ELm128ELm9EEvPKfS1_S1_iiiiPfiiil.num_named_barrier, 0
	.set _ZL12ssm_conv_f32ILb0ELm128ELm9EEvPKfS1_S1_iiiiPfiiil.private_seg_size, 0
	.set _ZL12ssm_conv_f32ILb0ELm128ELm9EEvPKfS1_S1_iiiiPfiiil.uses_vcc, 1
	.set _ZL12ssm_conv_f32ILb0ELm128ELm9EEvPKfS1_S1_iiiiPfiiil.uses_flat_scratch, 0
	.set _ZL12ssm_conv_f32ILb0ELm128ELm9EEvPKfS1_S1_iiiiPfiiil.has_dyn_sized_stack, 0
	.set _ZL12ssm_conv_f32ILb0ELm128ELm9EEvPKfS1_S1_iiiiPfiiil.has_recursion, 0
	.set _ZL12ssm_conv_f32ILb0ELm128ELm9EEvPKfS1_S1_iiiiPfiiil.has_indirect_call, 0
	.section	.AMDGPU.csdata,"",@progbits
; Kernel info:
; codeLenInByte = 1888
; TotalNumSgprs: 106
; NumVgprs: 30
; ScratchSize: 0
; MemoryBound: 0
; FloatMode: 240
; IeeeMode: 1
; LDSByteSize: 0 bytes/workgroup (compile time only)
; SGPRBlocks: 0
; VGPRBlocks: 1
; NumSGPRsForWavesPerEU: 106
; NumVGPRsForWavesPerEU: 30
; NamedBarCnt: 0
; Occupancy: 16
; WaveLimiterHint : 0
; COMPUTE_PGM_RSRC2:SCRATCH_EN: 0
; COMPUTE_PGM_RSRC2:USER_SGPR: 2
; COMPUTE_PGM_RSRC2:TRAP_HANDLER: 0
; COMPUTE_PGM_RSRC2:TGID_X_EN: 1
; COMPUTE_PGM_RSRC2:TGID_Y_EN: 1
; COMPUTE_PGM_RSRC2:TGID_Z_EN: 0
; COMPUTE_PGM_RSRC2:TIDIG_COMP_CNT: 0
	.section	.text._ZL23ssm_conv_long_token_f32ILb0ELm128ELm9ELl32EEvPKfS1_S1_iiiiPfiiil,"axG",@progbits,_ZL23ssm_conv_long_token_f32ILb0ELm128ELm9ELl32EEvPKfS1_S1_iiiiPfiiil,comdat
	.globl	_ZL23ssm_conv_long_token_f32ILb0ELm128ELm9ELl32EEvPKfS1_S1_iiiiPfiiil ; -- Begin function _ZL23ssm_conv_long_token_f32ILb0ELm128ELm9ELl32EEvPKfS1_S1_iiiiPfiiil
	.p2align	8
	.type	_ZL23ssm_conv_long_token_f32ILb0ELm128ELm9ELl32EEvPKfS1_S1_iiiiPfiiil,@function
_ZL23ssm_conv_long_token_f32ILb0ELm128ELm9ELl32EEvPKfS1_S1_iiiiPfiiil: ; @_ZL23ssm_conv_long_token_f32ILb0ELm128ELm9ELl32EEvPKfS1_S1_iiiiPfiiil
; %bb.0:
	v_mul_u32_u24_e32 v1, 0x667, v0
	s_bfe_u32 s3, ttmp6, 0x40010
	s_and_b32 s2, ttmp7, 0xffff
	s_add_co_i32 s3, s3, 1
	s_bfe_u32 s8, ttmp6, 0x40004
	v_lshrrev_b32_e32 v7, 16, v1
	s_mul_i32 s3, s2, s3
	s_getreg_b32 s9, hwreg(HW_REG_IB_STS2, 6, 4)
	s_add_co_i32 s8, s8, s3
	s_clause 0x1
	s_load_b64 s[10:11], s[0:1], 0x0
	s_load_b128 s[4:7], s[0:1], 0x18
	v_mul_lo_u16 v1, v7, 40
	s_cmp_eq_u32 s9, 0
	s_cselect_b32 s2, s2, s8
	s_bfe_u32 s3, ttmp6, 0x40014
	s_delay_alu instid0(VALU_DEP_1)
	v_sub_nc_u16 v10, v0, v1
	s_lshr_b32 s8, ttmp7, 16
	s_add_co_i32 s3, s3, 1
	s_bfe_u32 s12, ttmp6, 0x40008
	s_mul_i32 s13, s8, s3
	v_or_b32_e32 v1, 0x80, v10
	v_and_b32_e32 v28, 0xffff, v10
	s_add_co_i32 s12, s12, s13
	s_cmp_eq_u32 s9, 0
	s_mov_b32 s3, 0
	v_mul_lo_u16 v2, 0xcd, v1
	s_cselect_b32 s8, s8, s12
	s_bfe_u32 s12, ttmp6, 0x4000c
	s_and_b32 s15, ttmp6, 15
	s_add_co_i32 s12, s12, 1
	v_lshrrev_b16 v14, 13, v2
	s_mul_i32 s12, ttmp9, s12
	s_wait_kmcnt 0x0
	s_mov_b32 s18, s4
	s_add_co_i32 s15, s15, s12
	s_cmp_eq_u32 s9, 0
	v_mul_lo_u16 v2, v14, 40
	v_and_b32_e32 v14, 0xffff, v14
	s_cselect_b32 s16, ttmp9, s15
	s_lshl_b32 s12, s8, 5
	s_ashr_i32 s8, s5, 2
	v_sub_nc_u16 v1, v1, v2
	s_ashr_i32 s19, s4, 31
	s_mul_i32 s4, s6, s16
	s_mov_b32 s14, s5
	s_lshl_b32 s2, s2, 7
	v_and_b32_e32 v8, 0xff, v1
	s_ashr_i32 s15, s5, 31
	s_ashr_i32 s5, s4, 31
	s_mov_b32 s13, s3
	s_mul_u64 s[14:15], s[2:3], s[14:15]
	v_or_b32_e32 v1, 0x80, v8
	s_add_nc_u64 s[4:5], s[10:11], s[4:5]
	s_mul_u64 s[18:19], s[12:13], s[18:19]
	s_add_nc_u64 s[4:5], s[4:5], s[14:15]
	s_mov_b32 s6, exec_lo
	v_mul_lo_u16 v2, 0xcd, v1
	s_add_nc_u64 s[4:5], s[4:5], s[18:19]
	s_delay_alu instid0(VALU_DEP_1) | instskip(NEXT) | instid1(VALU_DEP_1)
	v_lshrrev_b16 v15, 13, v2
	v_mul_lo_u16 v2, v15, 40
	s_delay_alu instid0(VALU_DEP_1) | instskip(NEXT) | instid1(VALU_DEP_1)
	v_sub_nc_u16 v1, v1, v2
	v_and_b32_e32 v9, 0xff, v1
	s_delay_alu instid0(VALU_DEP_1) | instskip(NEXT) | instid1(VALU_DEP_1)
	v_or_b32_e32 v1, 0x80, v9
	v_mul_lo_u16 v2, 0xcd, v1
	s_delay_alu instid0(VALU_DEP_1) | instskip(NEXT) | instid1(VALU_DEP_1)
	v_lshrrev_b16 v16, 13, v2
	v_mul_lo_u16 v2, v16, 40
	s_delay_alu instid0(VALU_DEP_1) | instskip(NEXT) | instid1(VALU_DEP_1)
	v_sub_nc_u16 v1, v1, v2
	v_and_b32_e32 v11, 0xff, v1
	s_delay_alu instid0(VALU_DEP_1) | instskip(NEXT) | instid1(VALU_DEP_1)
	v_or_b32_e32 v1, 0x80, v11
	v_mul_lo_u16 v2, 0xcd, v1
	s_delay_alu instid0(VALU_DEP_1) | instskip(NEXT) | instid1(VALU_DEP_1)
	v_lshrrev_b16 v17, 13, v2
	v_mul_lo_u16 v2, v17, 40
	v_and_b32_e32 v17, 0xffff, v17
	v_add_nc_u32_e32 v30, v7, v14
	v_and_b32_e32 v14, 0xffff, v15
	s_delay_alu instid0(VALU_DEP_4) | instskip(NEXT) | instid1(VALU_DEP_2)
	v_sub_nc_u16 v1, v1, v2
	v_add_nc_u32_e32 v31, v30, v14
	v_and_b32_e32 v14, 0xffff, v16
	s_delay_alu instid0(VALU_DEP_3)
	v_and_b32_e32 v12, 0xff, v1
	v_mad_u32 v23, s8, v7, v28
	v_lshlrev_b32_e32 v28, 2, v28
	v_mul_u32_u24_e32 v7, 0xa0, v7
	v_add_nc_u32_e32 v33, v31, v14
	v_or_b32_e32 v1, 0x80, v12
	s_delay_alu instid0(VALU_DEP_3) | instskip(NEXT) | instid1(VALU_DEP_3)
	v_add3_u32 v7, 0, v7, v28
	v_add_nc_u32_e32 v35, v33, v17
	s_delay_alu instid0(VALU_DEP_3)
	v_mul_lo_u16 v2, 0xcd, v1
	v_mad_u32 v16, v30, s8, v8
	global_load_b32 v32, v23, s[4:5] scale_offset
	v_mul_u32_u24_e32 v28, 0xa0, v30
	v_lshlrev_b32_e32 v8, 2, v8
	v_lshrrev_b16 v19, 13, v2
	s_delay_alu instid0(VALU_DEP_2) | instskip(NEXT) | instid1(VALU_DEP_2)
	v_add3_u32 v8, 0, v28, v8
	v_mul_lo_u16 v2, v19, 40
	v_and_b32_e32 v17, 0xffff, v19
	global_load_b32 v36, v16, s[4:5] scale_offset
	v_sub_nc_u16 v1, v1, v2
	v_add_nc_u32_e32 v41, v35, v17
	s_delay_alu instid0(VALU_DEP_2) | instskip(NEXT) | instid1(VALU_DEP_1)
	v_and_b32_e32 v13, 0xff, v1
	v_or_b32_e32 v1, 0x80, v13
	s_delay_alu instid0(VALU_DEP_1) | instskip(NEXT) | instid1(VALU_DEP_1)
	v_mul_lo_u16 v2, 0xcd, v1
	v_lshrrev_b16 v18, 13, v2
	s_delay_alu instid0(VALU_DEP_1) | instskip(SKIP_1) | instid1(VALU_DEP_2)
	v_mul_lo_u16 v2, v18, 40
	v_and_b32_e32 v18, 0xffff, v18
	v_sub_nc_u16 v1, v1, v2
	s_delay_alu instid0(VALU_DEP_2) | instskip(NEXT) | instid1(VALU_DEP_2)
	v_add_nc_u32_e32 v18, v41, v18
	v_and_b32_e32 v2, 0xff, v1
	s_delay_alu instid0(VALU_DEP_1) | instskip(NEXT) | instid1(VALU_DEP_1)
	v_or_b32_e32 v1, 0x80, v2
	v_mul_lo_u16 v3, 0xcd, v1
	s_delay_alu instid0(VALU_DEP_1) | instskip(NEXT) | instid1(VALU_DEP_1)
	v_lshrrev_b16 v21, 13, v3
	v_mul_lo_u16 v3, v21, 40
	v_and_b32_e32 v21, 0xffff, v21
	s_delay_alu instid0(VALU_DEP_2) | instskip(NEXT) | instid1(VALU_DEP_1)
	v_sub_nc_u16 v1, v1, v3
	v_and_b32_e32 v1, 0xff, v1
	s_delay_alu instid0(VALU_DEP_1) | instskip(NEXT) | instid1(VALU_DEP_1)
	v_or_b32_e32 v3, 0x80, v1
	v_mul_lo_u16 v4, 0xcd, v3
	s_delay_alu instid0(VALU_DEP_1) | instskip(NEXT) | instid1(VALU_DEP_1)
	v_lshrrev_b16 v22, 13, v4
	v_mul_lo_u16 v4, v22, 40
	v_and_b32_e32 v22, 0xffff, v22
	s_delay_alu instid0(VALU_DEP_2) | instskip(NEXT) | instid1(VALU_DEP_1)
	v_sub_nc_u16 v3, v3, v4
	;; [unrolled: 10-line block ×5, first 2 shown]
	v_and_b32_e32 v6, 0xff, v6
	s_delay_alu instid0(VALU_DEP_1) | instskip(NEXT) | instid1(VALU_DEP_1)
	v_or_b32_e32 v20, 0x80, v6
	v_mul_lo_u16 v10, 0xcd, v20
	s_delay_alu instid0(VALU_DEP_1) | instskip(NEXT) | instid1(VALU_DEP_1)
	v_lshrrev_b16 v29, 13, v10
	v_mul_lo_u16 v10, v29, 40
	v_and_b32_e32 v29, 0xffff, v29
	s_delay_alu instid0(VALU_DEP_2)
	v_sub_nc_u16 v10, v20, v10
	v_mad_u32 v20, v31, s8, v9
	v_mul_u32_u24_e32 v31, 0xa0, v31
	v_lshlrev_b32_e32 v9, 2, v9
	v_add_nc_u32_e32 v21, v18, v21
	v_and_b32_e32 v10, 0xff, v10
	s_delay_alu instid0(VALU_DEP_3) | instskip(SKIP_1) | instid1(VALU_DEP_3)
	v_add3_u32 v9, 0, v31, v9
	v_mul_u32_u24_e32 v31, 0xa0, v33
	v_or_b32_e32 v15, 0x80, v10
	global_load_b32 v37, v20, s[4:5] scale_offset
	s_wait_xcnt 0x1
	v_mad_u32 v16, v35, s8, v12
	v_lshlrev_b32_e32 v12, 2, v12
	v_mul_lo_u16 v14, 0xcd, v15
	s_delay_alu instid0(VALU_DEP_1)
	v_lshrrev_b16 v34, 13, v14
	global_load_b32 v39, v16, s[4:5] scale_offset
	v_mad_u32 v23, v33, s8, v11
	v_mul_lo_u16 v14, v34, 40
	v_dual_lshlrev_b32 v11, 2, v11 :: v_dual_add_nc_u32 v22, v21, v22
	v_mul_u32_u24_e32 v33, 0xa0, v35
	v_and_b32_e32 v34, 0xffff, v34
	s_delay_alu instid0(VALU_DEP_4) | instskip(NEXT) | instid1(VALU_DEP_4)
	v_sub_nc_u16 v14, v15, v14
	v_add3_u32 v11, 0, v31, v11
	v_add_nc_u32_e32 v24, v22, v24
	v_add3_u32 v12, 0, v33, v12
	v_mul_u32_u24_e32 v33, 0xa0, v41
	global_load_b32 v38, v23, s[4:5] scale_offset
	v_and_b32_e32 v14, 0xff, v14
	s_delay_alu instid0(VALU_DEP_1) | instskip(SKIP_1) | instid1(VALU_DEP_1)
	v_or_b32_e32 v15, 0x80, v14
	s_wait_xcnt 0x1
	v_mul_lo_u16 v16, 0xcd, v15
	s_delay_alu instid0(VALU_DEP_1) | instskip(NEXT) | instid1(VALU_DEP_1)
	v_lshrrev_b16 v40, 13, v16
	v_mul_lo_u16 v16, v40, 40
	v_and_b32_e32 v40, 0xffff, v40
	s_delay_alu instid0(VALU_DEP_2) | instskip(SKIP_3) | instid1(VALU_DEP_4)
	v_sub_nc_u16 v15, v15, v16
	v_mad_u32 v16, v41, s8, v13
	v_dual_lshlrev_b32 v13, 2, v13 :: v_dual_add_nc_u32 v26, v24, v26
	v_mad_u32 v41, v18, s8, v2
	v_and_b32_e32 v15, 0xff, v15
	v_mad_u32 v53, v24, s8, v4
	s_delay_alu instid0(VALU_DEP_4)
	v_add3_u32 v13, 0, v33, v13
	v_add_nc_u32_e32 v27, v26, v27
	v_mul_lo_u32 v18, 0xa0, v18
	v_or_b32_e32 v17, 0x80, v15
	v_lshlrev_b32_e32 v2, 2, v2
	global_load_b32 v25, v16, s[4:5] scale_offset
	v_add_nc_u32_e32 v29, v27, v29
	v_mad_u32 v55, v26, s8, v5
	v_mul_lo_u16 v19, 0xcd, v17
	s_delay_alu instid0(VALU_DEP_3) | instskip(SKIP_1) | instid1(VALU_DEP_3)
	v_dual_lshlrev_b32 v4, 2, v4 :: v_dual_add_nc_u32 v34, v29, v34
	v_mad_u32 v56, v27, s8, v6
	v_lshrrev_b16 v42, 13, v19
	s_delay_alu instid0(VALU_DEP_3) | instskip(SKIP_1) | instid1(VALU_DEP_2)
	v_add_nc_u32_e32 v40, v34, v40
	s_wait_xcnt 0x0
	v_mul_lo_u16 v16, v42, 40
	v_and_b32_e32 v42, 0xffff, v42
	s_delay_alu instid0(VALU_DEP_2) | instskip(NEXT) | instid1(VALU_DEP_1)
	v_sub_nc_u16 v16, v17, v16
	v_and_b32_e32 v16, 0xff, v16
	s_delay_alu instid0(VALU_DEP_1) | instskip(NEXT) | instid1(VALU_DEP_1)
	v_or_b32_e32 v17, 0x80, v16
	v_mul_lo_u16 v19, 0xcd, v17
	s_delay_alu instid0(VALU_DEP_1) | instskip(NEXT) | instid1(VALU_DEP_1)
	v_lshrrev_b16 v43, 13, v19
	v_mul_lo_u16 v19, v43, 40
	s_delay_alu instid0(VALU_DEP_1) | instskip(NEXT) | instid1(VALU_DEP_1)
	v_sub_nc_u16 v17, v17, v19
	v_and_b32_e32 v17, 0xff, v17
	s_delay_alu instid0(VALU_DEP_1) | instskip(NEXT) | instid1(VALU_DEP_1)
	v_or_b32_e32 v19, 0x80, v17
	v_mul_lo_u16 v20, 0xcd, v19
	s_delay_alu instid0(VALU_DEP_1) | instskip(NEXT) | instid1(VALU_DEP_1)
	v_lshrrev_b16 v44, 13, v20
	v_mul_lo_u16 v20, v44, 40
	v_and_b32_e32 v44, 0xffff, v44
	s_delay_alu instid0(VALU_DEP_2) | instskip(NEXT) | instid1(VALU_DEP_1)
	v_sub_nc_u16 v19, v19, v20
	v_and_b32_e32 v19, 0xff, v19
	s_delay_alu instid0(VALU_DEP_1) | instskip(NEXT) | instid1(VALU_DEP_1)
	v_or_b32_e32 v20, 0x80, v19
	v_mul_lo_u16 v23, 0xcd, v20
	s_delay_alu instid0(VALU_DEP_1) | instskip(NEXT) | instid1(VALU_DEP_1)
	v_lshrrev_b16 v45, 13, v23
	v_mul_lo_u16 v23, v45, 40
	s_delay_alu instid0(VALU_DEP_1) | instskip(NEXT) | instid1(VALU_DEP_1)
	v_sub_nc_u16 v20, v20, v23
	v_and_b32_e32 v20, 0xff, v20
	s_delay_alu instid0(VALU_DEP_1) | instskip(NEXT) | instid1(VALU_DEP_1)
	v_or_b32_e32 v23, 0x80, v20
	v_mul_lo_u16 v46, 0xcd, v23
	s_delay_alu instid0(VALU_DEP_1) | instskip(NEXT) | instid1(VALU_DEP_1)
	v_lshrrev_b16 v46, 13, v46
	v_mul_lo_u16 v47, v46, 40
	s_delay_alu instid0(VALU_DEP_1) | instskip(NEXT) | instid1(VALU_DEP_1)
	;; [unrolled: 9-line block ×4, first 2 shown]
	v_sub_nc_u16 v49, v49, v51
	v_and_b32_e32 v49, 0xff, v49
	s_delay_alu instid0(VALU_DEP_1) | instskip(NEXT) | instid1(VALU_DEP_1)
	v_or_b32_e32 v51, 0x80, v49
	v_mul_lo_u16 v52, 0xcd, v51
	s_delay_alu instid0(VALU_DEP_1) | instskip(NEXT) | instid1(VALU_DEP_1)
	v_lshrrev_b16 v30, 13, v52
	v_mul_lo_u16 v52, v30, 40
	v_and_b32_e32 v30, 0xffff, v30
	s_delay_alu instid0(VALU_DEP_2)
	v_sub_nc_u16 v28, v51, v52
	v_mad_u32 v51, v21, s8, v1
	v_mad_u32 v52, v22, s8, v3
	v_lshlrev_b32_e32 v1, 2, v1
	v_add3_u32 v2, 0, v18, v2
	v_and_b32_e32 v28, 0xff, v28
	v_lshlrev_b32_e32 v3, 2, v3
	s_delay_alu instid0(VALU_DEP_2) | instskip(NEXT) | instid1(VALU_DEP_1)
	v_or_b32_e32 v31, 0x80, v28
	v_mul_lo_u16 v35, 0xcd, v31
	s_delay_alu instid0(VALU_DEP_1) | instskip(NEXT) | instid1(VALU_DEP_1)
	v_lshrrev_b16 v35, 13, v35
	v_mul_lo_u16 v54, v35, 40
	v_and_b32_e32 v35, 0xffff, v35
	s_delay_alu instid0(VALU_DEP_2)
	v_sub_nc_u16 v31, v31, v54
	s_clause 0x1
	global_load_b32 v54, v41, s[4:5] scale_offset
	global_load_b32 v57, v51, s[4:5] scale_offset
	s_wait_loadcnt 0x7
	ds_store_b32 v7, v32
	v_add_nc_u32_e32 v7, v40, v42
	v_and_b32_e32 v32, 0xffff, v43
	v_and_b32_e32 v31, 0xff, v31
	s_clause 0x3
	global_load_b32 v41, v52, s[4:5] scale_offset
	global_load_b32 v42, v53, s[4:5] scale_offset
	;; [unrolled: 1-line block ×4, first 2 shown]
	s_wait_loadcnt 0xa
	ds_store_b32 v8, v36
	s_wait_loadcnt 0x9
	ds_store_b32 v9, v37
	v_and_b32_e32 v37, 0xffff, v45
	s_wait_xcnt 0x2
	v_or_b32_e32 v53, 0x80, v31
	v_mad_u32 v52, v29, s8, v10
	v_mad_u32 v8, v34, s8, v14
	s_delay_alu instid0(VALU_DEP_3) | instskip(NEXT) | instid1(VALU_DEP_1)
	v_mul_lo_u16 v9, 0xcd, v53
	v_lshrrev_b16 v9, 13, v9
	s_wait_loadcnt 0x7
	ds_store_b32 v11, v38
	v_and_b32_e32 v38, 0xffff, v46
	v_add_nc_u32_e32 v32, v7, v32
	v_and_b32_e32 v46, 0xffff, v48
	ds_store_b32 v12, v39
	v_mul_lo_u16 v12, v9, 40
	v_mad_u32 v11, v7, s8, v16
	v_add_nc_u32_e32 v36, v32, v44
	v_and_b32_e32 v9, 0xffff, v9
	s_delay_alu instid0(VALU_DEP_4) | instskip(NEXT) | instid1(VALU_DEP_3)
	v_sub_nc_u16 v12, v53, v12
	v_add_nc_u32_e32 v37, v36, v37
	v_mad_u32 v44, v40, s8, v15
	s_clause 0x3
	global_load_b32 v48, v52, s[4:5] scale_offset
	global_load_b32 v53, v8, s[4:5] scale_offset
	;; [unrolled: 1-line block ×4, first 2 shown]
	v_add_nc_u32_e32 v38, v37, v38
	s_wait_xcnt 0x0
	v_and_b32_e32 v11, 0xff, v12
	v_and_b32_e32 v12, 0xffff, v50
	v_mad_u32 v39, v32, s8, v17
	v_add_nc_u32_e32 v8, v38, v46
	v_mad_u32 v45, v36, s8, v19
	s_clause 0x1
	global_load_b32 v44, v39, s[4:5] scale_offset
	global_load_b32 v46, v45, s[4:5] scale_offset
	v_add_nc_u32_e32 v12, v8, v12
	s_wait_xcnt 0x0
	v_or_b32_e32 v45, 0x80, v11
	v_mad_u32 v39, v37, s8, v20
	v_mad_u32 v50, v38, s8, v23
	v_mad_u32 v52, v8, s8, v47
	v_add_nc_u32_e32 v30, v12, v30
	v_mul_lo_u16 v58, 0xcd, v45
	s_delay_alu instid0(VALU_DEP_2) | instskip(NEXT) | instid1(VALU_DEP_2)
	v_add_nc_u32_e32 v33, v30, v35
	v_lshrrev_b16 v58, 13, v58
	s_delay_alu instid0(VALU_DEP_2) | instskip(SKIP_1) | instid1(VALU_DEP_3)
	v_add_nc_u32_e32 v9, v33, v9
	v_mad_u32 v59, v12, s8, v49
	v_mul_lo_u16 v35, v58, 40
	s_clause 0x3
	global_load_b32 v60, v39, s[4:5] scale_offset
	global_load_b32 v61, v50, s[4:5] scale_offset
	;; [unrolled: 1-line block ×4, first 2 shown]
	s_wait_xcnt 0x3
	v_and_b32_e32 v39, 0xffff, v58
	v_sub_nc_u16 v35, v45, v35
	s_wait_loadcnt 0x10
	ds_store_b32 v13, v25
	v_add_nc_u32_e32 v13, v9, v39
	v_and_b32_e32 v25, 0xff, v35
	v_mad_u32 v18, v30, s8, v28
	v_mad_u32 v35, v33, s8, v31
	v_mad_u32 v39, v9, s8, v11
	s_delay_alu instid0(VALU_DEP_4)
	v_mad_u32 v45, v13, s8, v25
	s_clause 0x3
	global_load_b32 v50, v18, s[4:5] scale_offset
	global_load_b32 v52, v35, s[4:5] scale_offset
	;; [unrolled: 1-line block ×4, first 2 shown]
	s_wait_xcnt 0x3
	v_mul_lo_u32 v18, 0xa0, v21
	v_mul_lo_u32 v21, 0xa0, v22
	;; [unrolled: 1-line block ×4, first 2 shown]
	s_delay_alu instid0(VALU_DEP_4)
	v_add3_u32 v1, 0, v18, v1
	v_mul_lo_u32 v18, 0xa0, v27
	s_wait_loadcnt 0x13
	ds_store_b32 v2, v54
	v_add3_u32 v2, 0, v21, v3
	v_lshlrev_b32_e32 v3, 2, v5
	s_wait_loadcnt 0x12
	ds_store_b32 v1, v57
	v_add3_u32 v1, 0, v22, v4
	v_lshlrev_b32_e32 v4, 2, v6
	s_wait_loadcnt 0x11
	ds_store_b32 v2, v41
	v_add3_u32 v2, 0, v24, v3
	v_mul_lo_u32 v3, 0xa0, v29
	s_wait_loadcnt 0x10
	ds_store_b32 v1, v42
	v_add3_u32 v1, 0, v18, v4
	v_mul_lo_u32 v4, 0xa0, v34
	v_mul_lo_u32 v5, 0xa0, v40
	;; [unrolled: 1-line block ×3, first 2 shown]
	s_wait_loadcnt 0xf
	ds_store_b32 v2, v43
	v_dual_lshlrev_b32 v2, 2, v10 :: v_dual_lshlrev_b32 v7, 2, v15
	s_wait_loadcnt 0xe
	ds_store_b32 v1, v51
	v_lshlrev_b32_e32 v1, 2, v14
	v_mul_lo_u32 v10, 0xa0, v32
	v_add3_u32 v2, 0, v3, v2
	v_lshlrev_b32_e32 v3, 2, v16
	s_delay_alu instid0(VALU_DEP_4)
	v_add3_u32 v1, 0, v4, v1
	v_add3_u32 v4, 0, v5, v7
	v_mul_lo_u32 v5, 0xa0, v36
	v_lshlrev_b32_e32 v7, 2, v23
	s_wait_loadcnt 0xd
	ds_store_b32 v2, v48
	v_add3_u32 v2, 0, v6, v3
	v_lshlrev_b32_e32 v3, 2, v17
	s_wait_loadcnt 0xc
	ds_store_b32 v1, v53
	s_wait_loadcnt 0xb
	ds_store_b32 v4, v55
	v_lshlrev_b32_e32 v1, 2, v19
	v_mul_lo_u32 v4, 0xa0, v38
	s_wait_loadcnt 0xa
	ds_store_b32 v2, v56
	v_add3_u32 v2, 0, v10, v3
	v_mul_lo_u32 v3, 0xa0, v37
	v_add3_u32 v1, 0, v5, v1
	v_mul_lo_u32 v5, 0xa0, v8
	v_mul_lo_u32 v6, 0xa0, v12
	v_lshlrev_b32_e32 v8, 2, v49
	v_lshlrev_b32_e32 v10, 2, v25
	s_wait_loadcnt 0x9
	ds_store_b32 v2, v44
	v_lshlrev_b32_e32 v2, 2, v20
	s_wait_loadcnt 0x8
	ds_store_b32 v1, v46
	v_lshlrev_b32_e32 v1, 2, v47
	v_add3_u32 v2, 0, v3, v2
	v_add3_u32 v3, 0, v4, v7
	v_or_b32_e32 v4, 0x80, v25
	s_delay_alu instid0(VALU_DEP_4)
	v_add3_u32 v1, 0, v5, v1
	v_add3_u32 v5, 0, v6, v8
	v_mul_lo_u32 v6, 0xa0, v30
	v_lshlrev_b32_e32 v8, 2, v31
	v_mul_lo_u32 v7, 0xa0, v13
	s_wait_loadcnt 0x7
	ds_store_b32 v2, v60
	v_mul_lo_u16 v2, 0xcd, v4
	s_wait_loadcnt 0x6
	ds_store_b32 v3, v61
	s_wait_loadcnt 0x5
	ds_store_b32 v1, v62
	;; [unrolled: 2-line block ×3, first 2 shown]
	v_lshlrev_b32_e32 v1, 2, v28
	v_mul_lo_u32 v3, 0xa0, v33
	v_lshrrev_b16 v2, 13, v2
	v_mul_lo_u32 v5, 0xa0, v9
	v_lshlrev_b32_e32 v9, 2, v11
	v_add3_u32 v6, 0, v6, v1
	v_add3_u32 v7, 0, v7, v10
	v_mul_lo_u16 v1, v2, 40
	v_and_b32_e32 v2, 0xffff, v2
	s_delay_alu instid0(VALU_DEP_2) | instskip(NEXT) | instid1(VALU_DEP_2)
	v_sub_nc_u16 v4, v4, v1
	v_add_nc_u32_e32 v1, v13, v2
	v_add3_u32 v3, 0, v3, v8
	v_add3_u32 v5, 0, v5, v9
	s_wait_loadcnt 0x3
	ds_store_b32 v6, v50
	s_wait_loadcnt 0x2
	ds_store_b32 v3, v52
	;; [unrolled: 2-line block ×4, first 2 shown]
	v_and_b32_e32 v2, 0xff, v4
	v_cmpx_gt_u32_e32 0x80, v1
	s_cbranch_execz .LBB17_2
; %bb.1:
	s_delay_alu instid0(VALU_DEP_2)
	v_mad_u32 v3, v1, s8, v2
	v_mul_lo_u32 v4, 0xa0, v1
	v_lshlrev_b32_e32 v5, 2, v2
	global_load_b32 v3, v3, s[4:5] scale_offset
	v_add3_u32 v4, 0, v4, v5
	s_wait_loadcnt 0x0
	ds_store_b32 v4, v3
.LBB17_2:
	s_or_b32 exec_lo, exec_lo, s6
	s_delay_alu instid0(VALU_DEP_2) | instskip(SKIP_1) | instid1(VALU_DEP_1)
	v_or_b32_e32 v2, 0x80, v2
	s_mov_b32 s6, exec_lo
	v_mul_lo_u16 v3, 0xcd, v2
	s_delay_alu instid0(VALU_DEP_1) | instskip(NEXT) | instid1(VALU_DEP_1)
	v_lshrrev_b16 v3, 13, v3
	v_mul_lo_u16 v4, v3, 40
	v_and_b32_e32 v3, 0xffff, v3
	s_delay_alu instid0(VALU_DEP_2) | instskip(NEXT) | instid1(VALU_DEP_2)
	v_sub_nc_u16 v2, v2, v4
	v_add_nc_u32_e32 v1, v1, v3
	s_delay_alu instid0(VALU_DEP_2) | instskip(NEXT) | instid1(VALU_DEP_2)
	v_and_b32_e32 v2, 0xff, v2
	v_cmpx_gt_u32_e32 0x80, v1
	s_cbranch_execz .LBB17_4
; %bb.3:
	s_delay_alu instid0(VALU_DEP_2)
	v_mad_u32 v3, v1, s8, v2
	v_mul_lo_u32 v4, 0xa0, v1
	v_lshlrev_b32_e32 v5, 2, v2
	global_load_b32 v3, v3, s[4:5] scale_offset
	v_add3_u32 v4, 0, v4, v5
	s_wait_loadcnt 0x0
	ds_store_b32 v4, v3
.LBB17_4:
	s_or_b32 exec_lo, exec_lo, s6
	s_delay_alu instid0(VALU_DEP_2) | instskip(SKIP_1) | instid1(VALU_DEP_1)
	v_or_b32_e32 v2, 0x80, v2
	s_mov_b32 s6, exec_lo
	v_mul_lo_u16 v3, 0xcd, v2
	s_delay_alu instid0(VALU_DEP_1) | instskip(NEXT) | instid1(VALU_DEP_1)
	v_lshrrev_b16 v3, 13, v3
	v_mul_lo_u16 v4, v3, 40
	v_and_b32_e32 v3, 0xffff, v3
	s_delay_alu instid0(VALU_DEP_2) | instskip(NEXT) | instid1(VALU_DEP_2)
	v_sub_nc_u16 v2, v2, v4
	v_add_nc_u32_e32 v1, v1, v3
	s_delay_alu instid0(VALU_DEP_2) | instskip(NEXT) | instid1(VALU_DEP_2)
	;; [unrolled: 26-line block ×6, first 2 shown]
	v_and_b32_e32 v2, 0xff, v2
	v_cmpx_gt_u32_e32 0x80, v1
	s_cbranch_execz .LBB17_14
; %bb.13:
	s_delay_alu instid0(VALU_DEP_2)
	v_mad_u32 v3, v1, s8, v2
	v_mul_lo_u32 v4, 0xa0, v1
	v_lshlrev_b32_e32 v5, 2, v2
	global_load_b32 v3, v3, s[4:5] scale_offset
	v_add3_u32 v4, 0, v4, v5
	s_wait_loadcnt 0x0
	ds_store_b32 v4, v3
.LBB17_14:
	s_or_b32 exec_lo, exec_lo, s6
	s_delay_alu instid0(SALU_CYCLE_1)
	s_mov_b32 s6, exec_lo
	v_cmpx_gt_u32_e32 0x380, v0
	s_cbranch_execz .LBB17_35
; %bb.15:
	v_or_b32_e32 v2, 0x80, v2
	s_mov_b32 s9, exec_lo
	s_delay_alu instid0(VALU_DEP_1) | instskip(NEXT) | instid1(VALU_DEP_1)
	v_mul_lo_u16 v3, 0xcd, v2
	v_lshrrev_b16 v3, 13, v3
	s_delay_alu instid0(VALU_DEP_1) | instskip(SKIP_1) | instid1(VALU_DEP_2)
	v_mul_lo_u16 v4, v3, 40
	v_and_b32_e32 v3, 0xffff, v3
	v_sub_nc_u16 v2, v2, v4
	s_delay_alu instid0(VALU_DEP_2) | instskip(NEXT) | instid1(VALU_DEP_2)
	v_add_nc_u32_e32 v1, v1, v3
	v_and_b32_e32 v2, 0xff, v2
	s_delay_alu instid0(VALU_DEP_2)
	v_cmpx_gt_u32_e32 0x80, v1
	s_cbranch_execz .LBB17_17
; %bb.16:
	s_delay_alu instid0(VALU_DEP_2)
	v_mad_u32 v3, v1, s8, v2
	v_mul_lo_u32 v4, 0xa0, v1
	v_lshlrev_b32_e32 v5, 2, v2
	global_load_b32 v3, v3, s[4:5] scale_offset
	v_add3_u32 v4, 0, v4, v5
	s_wait_loadcnt 0x0
	ds_store_b32 v4, v3
.LBB17_17:
	s_or_b32 exec_lo, exec_lo, s9
	v_cmp_gt_u32_e32 vcc_lo, 0x300, v0
	s_and_b32 exec_lo, exec_lo, vcc_lo
	s_cbranch_execz .LBB17_35
; %bb.18:
	v_or_b32_e32 v2, 0x80, v2
	s_mov_b32 s9, exec_lo
	s_delay_alu instid0(VALU_DEP_1) | instskip(NEXT) | instid1(VALU_DEP_1)
	v_mul_lo_u16 v3, 0xcd, v2
	v_lshrrev_b16 v3, 13, v3
	s_delay_alu instid0(VALU_DEP_1) | instskip(SKIP_1) | instid1(VALU_DEP_2)
	v_mul_lo_u16 v4, v3, 40
	v_and_b32_e32 v3, 0xffff, v3
	v_sub_nc_u16 v2, v2, v4
	s_delay_alu instid0(VALU_DEP_2) | instskip(NEXT) | instid1(VALU_DEP_2)
	v_add_nc_u32_e32 v1, v1, v3
	v_and_b32_e32 v2, 0xff, v2
	s_delay_alu instid0(VALU_DEP_2)
	v_cmpx_gt_u32_e32 0x80, v1
	s_cbranch_execz .LBB17_20
; %bb.19:
	s_delay_alu instid0(VALU_DEP_2)
	v_mad_u32 v3, v1, s8, v2
	v_mul_lo_u32 v4, 0xa0, v1
	v_lshlrev_b32_e32 v5, 2, v2
	global_load_b32 v3, v3, s[4:5] scale_offset
	v_add3_u32 v4, 0, v4, v5
	s_wait_loadcnt 0x0
	ds_store_b32 v4, v3
.LBB17_20:
	s_or_b32 exec_lo, exec_lo, s9
	v_cmp_gt_u32_e32 vcc_lo, 0x280, v0
	s_and_b32 exec_lo, exec_lo, vcc_lo
	;; [unrolled: 30-line block ×6, first 2 shown]
	s_cbranch_execz .LBB17_35
; %bb.33:
	v_or_b32_e32 v2, 0x80, v2
	s_delay_alu instid0(VALU_DEP_1) | instskip(NEXT) | instid1(VALU_DEP_1)
	v_mul_lo_u16 v3, 0xcd, v2
	v_lshrrev_b16 v3, 13, v3
	s_delay_alu instid0(VALU_DEP_1) | instskip(NEXT) | instid1(VALU_DEP_1)
	v_and_b32_e32 v4, 0xffff, v3
	v_add_nc_u32_e32 v1, v1, v4
	s_delay_alu instid0(VALU_DEP_1)
	v_cmp_gt_u32_e32 vcc_lo, 0x80, v1
	s_and_b32 exec_lo, exec_lo, vcc_lo
	s_cbranch_execz .LBB17_35
; %bb.34:
	v_mul_lo_u16 v3, v3, 40
	s_delay_alu instid0(VALU_DEP_1) | instskip(NEXT) | instid1(VALU_DEP_1)
	v_sub_nc_u16 v2, v2, v3
	v_and_b32_e32 v2, 0xff, v2
	s_delay_alu instid0(VALU_DEP_1)
	v_mad_u32 v3, v1, s8, v2
	v_mul_lo_u32 v1, 0xa0, v1
	v_lshlrev_b32_e32 v2, 2, v2
	global_load_b32 v3, v3, s[4:5] scale_offset
	v_add3_u32 v1, 0, v1, v2
	s_wait_loadcnt 0x0
	ds_store_b32 v1, v3
.LBB17_35:
	s_or_b32 exec_lo, exec_lo, s6
	s_clause 0x1
	s_load_b128 s[8:11], s[0:1], 0x8
	s_load_b64 s[14:15], s[0:1], 0x28
	s_ashr_i32 s4, s7, 2
	s_ashr_i32 s5, s7, 31
	v_mul_lo_u32 v10, s4, v0
	s_mov_b32 s4, s7
	s_wait_dscnt 0x0
	s_mul_u64 s[4:5], s[2:3], s[4:5]
	s_barrier_signal -1
	s_barrier_wait -1
	s_delay_alu instid0(VALU_DEP_1) | instskip(SKIP_3) | instid1(VALU_DEP_1)
	v_ashrrev_i32_e32 v11, 31, v10
	s_wait_kmcnt 0x0
	s_add_nc_u64 s[4:5], s[8:9], s[4:5]
	s_cmp_eq_u64 s[10:11], 0
	v_lshl_add_u64 v[12:13], v[10:11], 2, s[4:5]
	s_clause 0x2
	global_load_b128 v[6:9], v[12:13], off offset:16
	global_load_b32 v11, v10, s[4:5] offset:32 scale_offset
	global_load_b128 v[2:5], v[12:13], off
	s_cbranch_scc1 .LBB17_37
; %bb.36:
	s_wait_xcnt 0x1
	s_lshl_b64 s[4:5], s[2:3], 2
	s_delay_alu instid0(SALU_CYCLE_1)
	s_add_nc_u64 s[4:5], s[10:11], s[4:5]
	global_load_b32 v12, v0, s[4:5] scale_offset
	s_branch .LBB17_38
.LBB17_37:
	s_wait_xcnt 0x0
	v_mov_b32_e32 v12, 0
.LBB17_38:
	s_wait_xcnt 0x0
	s_load_b64 s[4:5], s[0:1], 0x40
	s_wait_kmcnt 0x0
	s_sub_nc_u64 s[4:5], s[4:5], s[12:13]
	s_delay_alu instid0(SALU_CYCLE_1)
	v_cmp_lt_i64_e64 s6, s[4:5], 1
	s_and_b32 vcc_lo, exec_lo, s6
	s_cbranch_vccnz .LBB17_46
; %bb.39:
	v_min_u64 v[20:21], s[4:5], 32
	s_load_b96 s[8:10], s[0:1], 0x30
	s_wait_loadcnt 0x0
	v_dual_mov_b32 v14, v3 :: v_dual_mov_b32 v15, v4
	v_dual_mov_b32 v16, v5 :: v_dual_mov_b32 v17, v6
	;; [unrolled: 1-line block ×4, first 2 shown]
	v_mul_u32_u24_e32 v36, 0xa0, v0
	v_lshlrev_b32_e32 v0, 2, v0
	s_wait_kmcnt 0x0
	s_mul_i32 s10, s10, s16
	s_ashr_i32 s7, s9, 31
	s_ashr_i32 s17, s8, 31
	;; [unrolled: 1-line block ×4, first 2 shown]
	s_cmp_eq_u64 s[4:5], 1
	s_mov_b32 s6, s9
	s_cselect_b32 s1, -1, 0
	s_cmp_lg_u32 s0, 1
	s_mov_b32 s16, s8
	s_cselect_b32 s8, -1, 0
	s_mul_u64 s[4:5], s[12:13], s[6:7]
	s_mul_u64 s[6:7], s[2:3], s[16:17]
	v_readfirstlane_b32 s2, v20
	v_readfirstlane_b32 s3, v21
	s_or_b32 s1, s1, s8
	s_add_nc_u64 s[8:9], s[14:15], s[10:11]
	s_and_b32 vcc_lo, exec_lo, s1
	s_cbranch_vccnz .LBB17_43
; %bb.40:
	v_dual_mov_b32 v22, v2 :: v_dual_add_nc_u32 v37, 0, v36
	s_add_nc_u64 s[10:11], s[8:9], s[4:5]
	v_dual_mov_b32 v23, v2 :: v_dual_mov_b32 v24, v14
	ds_load_2addr_b32 v[26:27], v37 offset1:1
	s_add_nc_u64 s[10:11], s[10:11], s[6:7]
	v_dual_mov_b32 v25, v3 :: v_dual_mov_b32 v28, v4
	v_add_nc_u64_e32 v[20:21], s[10:11], v[0:1]
	v_dual_mov_b32 v29, v15 :: v_dual_mov_b32 v4, v16
	v_dual_mov_b32 v30, v6 :: v_dual_mov_b32 v31, v17
	v_dual_mov_b32 v6, v18 :: v_dual_mov_b32 v32, v8
	v_dual_mov_b32 v33, v19 :: v_dual_mov_b32 v8, v10
	v_dual_mov_b32 v34, v11 :: v_dual_mov_b32 v35, v11
	v_mov_b32_e32 v13, v12
	s_and_b64 s[10:11], s[2:3], 62
	s_delay_alu instid0(SALU_CYCLE_1)
	s_mov_b64 s[12:13], s[10:11]
.LBB17_41:                              ; =>This Inner Loop Header: Depth=1
	ds_load_2addr_b32 v[38:39], v37 offset0:1 offset1:2
	s_wait_dscnt 0x1
	v_pk_fma_f32 v[40:41], v[22:23], v[26:27], 0 op_sel_hi:[1,1,0]
	ds_load_2addr_b32 v[26:27], v37 offset0:2 offset1:3
	ds_load_2addr_b32 v[42:43], v37 offset0:3 offset1:4
	;; [unrolled: 1-line block ×4, first 2 shown]
	s_add_nc_u64 s[12:13], s[12:13], -2
	ds_load_2addr_b32 v[48:49], v37 offset0:7 offset1:8
	s_cmp_lg_u64 s[12:13], 0
	s_wait_dscnt 0x5
	v_pk_fma_f32 v[38:39], v[24:25], v[38:39], v[40:41]
	ds_load_2addr_b32 v[40:41], v37 offset0:6 offset1:7
	s_wait_dscnt 0x5
	v_pk_fma_f32 v[38:39], v[28:29], v[26:27], v[38:39]
	s_wait_dscnt 0x4
	s_delay_alu instid0(VALU_DEP_1)
	v_pk_fma_f32 v[38:39], v[4:5], v[42:43], v[38:39]
	ds_load_2addr_b32 v[42:43], v37 offset0:8 offset1:9
	v_add_nc_u32_e32 v37, 8, v37
	s_wait_dscnt 0x4
	v_pk_fma_f32 v[38:39], v[30:31], v[44:45], v[38:39]
	s_wait_dscnt 0x3
	s_delay_alu instid0(VALU_DEP_1) | instskip(SKIP_1) | instid1(VALU_DEP_1)
	v_pk_fma_f32 v[38:39], v[6:7], v[46:47], v[38:39]
	s_wait_dscnt 0x1
	v_pk_fma_f32 v[38:39], v[32:33], v[40:41], v[38:39]
	s_delay_alu instid0(VALU_DEP_1) | instskip(SKIP_1) | instid1(VALU_DEP_1)
	v_pk_fma_f32 v[38:39], v[8:9], v[48:49], v[38:39]
	s_wait_dscnt 0x0
	v_pk_fma_f32 v[38:39], v[34:35], v[42:43], v[38:39]
	s_delay_alu instid0(VALU_DEP_1)
	v_pk_add_f32 v[38:39], v[12:13], v[38:39]
	global_store_b64 v[20:21], v[38:39], off
	s_wait_xcnt 0x0
	v_add_nc_u64_e32 v[20:21], 8, v[20:21]
	s_cbranch_scc1 .LBB17_41
; %bb.42:
	s_cmp_lg_u64 s[2:3], s[10:11]
	s_cselect_b32 s1, -1, 0
	s_delay_alu instid0(SALU_CYCLE_1)
	s_and_b32 vcc_lo, exec_lo, s1
	s_cbranch_vccnz .LBB17_44
	s_branch .LBB17_46
.LBB17_43:
	s_mov_b64 s[10:11], 0
	s_cbranch_execz .LBB17_46
.LBB17_44:
	s_lshl_b32 s1, s10, 2
	s_add_nc_u64 s[4:5], s[6:7], s[4:5]
	v_add3_u32 v3, 0, s1, v36
	s_ashr_i32 s1, s0, 31
	v_mov_b32_e32 v1, 0
	s_mul_u64 s[12:13], s[10:11], s[0:1]
	s_sub_nc_u64 s[2:3], s[2:3], s[10:11]
	ds_load_b32 v4, v3
	s_lshl_b64 s[6:7], s[12:13], 2
	s_lshl_b64 s[0:1], s[0:1], 2
	s_add_nc_u64 s[4:5], s[4:5], s[6:7]
	s_delay_alu instid0(SALU_CYCLE_1) | instskip(NEXT) | instid1(SALU_CYCLE_1)
	s_add_nc_u64 s[4:5], s[8:9], s[4:5]
	v_add_nc_u64_e32 v[0:1], s[4:5], v[0:1]
.LBB17_45:                              ; =>This Inner Loop Header: Depth=1
	s_wait_dscnt 0x0
	v_fma_f32 v13, v2, v4, 0
	ds_load_2addr_b32 v[4:5], v3 offset0:1 offset1:2
	ds_load_2addr_b32 v[6:7], v3 offset0:3 offset1:4
	;; [unrolled: 1-line block ×4, first 2 shown]
	s_add_nc_u64 s[2:3], s[2:3], -1
	v_add_nc_u32_e32 v3, 4, v3
	s_cmp_lg_u64 s[2:3], 0
	s_wait_dscnt 0x3
	v_pk_mul_f32 v[22:23], v[14:15], v[4:5]
	s_wait_dscnt 0x2
	v_pk_mul_f32 v[6:7], v[16:17], v[6:7]
	s_wait_dscnt 0x1
	v_pk_mul_f32 v[8:9], v[18:19], v[8:9]
	v_add_f32_e32 v5, v13, v22
	s_delay_alu instid0(VALU_DEP_1) | instskip(NEXT) | instid1(VALU_DEP_1)
	v_add_f32_e32 v5, v5, v23
	v_add_f32_e32 v5, v5, v6
	s_delay_alu instid0(VALU_DEP_1) | instskip(SKIP_2) | instid1(VALU_DEP_2)
	v_add_f32_e32 v5, v5, v7
	s_wait_dscnt 0x0
	v_pk_mul_f32 v[6:7], v[10:11], v[20:21]
	v_add_f32_e32 v5, v5, v8
	s_delay_alu instid0(VALU_DEP_1) | instskip(NEXT) | instid1(VALU_DEP_1)
	v_add_f32_e32 v5, v5, v9
	v_add_f32_e32 v5, v5, v6
	s_delay_alu instid0(VALU_DEP_1) | instskip(NEXT) | instid1(VALU_DEP_1)
	v_add_f32_e32 v5, v5, v7
	v_add_f32_e32 v5, v12, v5
	global_store_b32 v[0:1], v5, off
	s_wait_xcnt 0x0
	v_add_nc_u64_e32 v[0:1], s[0:1], v[0:1]
	s_cbranch_scc1 .LBB17_45
.LBB17_46:
	s_endpgm
	.section	.rodata,"a",@progbits
	.p2align	6, 0x0
	.amdhsa_kernel _ZL23ssm_conv_long_token_f32ILb0ELm128ELm9ELl32EEvPKfS1_S1_iiiiPfiiil
		.amdhsa_group_segment_fixed_size 0
		.amdhsa_private_segment_fixed_size 0
		.amdhsa_kernarg_size 72
		.amdhsa_user_sgpr_count 2
		.amdhsa_user_sgpr_dispatch_ptr 0
		.amdhsa_user_sgpr_queue_ptr 0
		.amdhsa_user_sgpr_kernarg_segment_ptr 1
		.amdhsa_user_sgpr_dispatch_id 0
		.amdhsa_user_sgpr_kernarg_preload_length 0
		.amdhsa_user_sgpr_kernarg_preload_offset 0
		.amdhsa_user_sgpr_private_segment_size 0
		.amdhsa_wavefront_size32 1
		.amdhsa_uses_dynamic_stack 0
		.amdhsa_enable_private_segment 0
		.amdhsa_system_sgpr_workgroup_id_x 1
		.amdhsa_system_sgpr_workgroup_id_y 1
		.amdhsa_system_sgpr_workgroup_id_z 1
		.amdhsa_system_sgpr_workgroup_info 0
		.amdhsa_system_vgpr_workitem_id 0
		.amdhsa_next_free_vgpr 64
		.amdhsa_next_free_sgpr 20
		.amdhsa_named_barrier_count 0
		.amdhsa_reserve_vcc 1
		.amdhsa_float_round_mode_32 0
		.amdhsa_float_round_mode_16_64 0
		.amdhsa_float_denorm_mode_32 3
		.amdhsa_float_denorm_mode_16_64 3
		.amdhsa_fp16_overflow 0
		.amdhsa_memory_ordered 1
		.amdhsa_forward_progress 1
		.amdhsa_inst_pref_size 55
		.amdhsa_round_robin_scheduling 0
		.amdhsa_exception_fp_ieee_invalid_op 0
		.amdhsa_exception_fp_denorm_src 0
		.amdhsa_exception_fp_ieee_div_zero 0
		.amdhsa_exception_fp_ieee_overflow 0
		.amdhsa_exception_fp_ieee_underflow 0
		.amdhsa_exception_fp_ieee_inexact 0
		.amdhsa_exception_int_div_zero 0
	.end_amdhsa_kernel
	.section	.text._ZL23ssm_conv_long_token_f32ILb0ELm128ELm9ELl32EEvPKfS1_S1_iiiiPfiiil,"axG",@progbits,_ZL23ssm_conv_long_token_f32ILb0ELm128ELm9ELl32EEvPKfS1_S1_iiiiPfiiil,comdat
.Lfunc_end17:
	.size	_ZL23ssm_conv_long_token_f32ILb0ELm128ELm9ELl32EEvPKfS1_S1_iiiiPfiiil, .Lfunc_end17-_ZL23ssm_conv_long_token_f32ILb0ELm128ELm9ELl32EEvPKfS1_S1_iiiiPfiiil
                                        ; -- End function
	.set _ZL23ssm_conv_long_token_f32ILb0ELm128ELm9ELl32EEvPKfS1_S1_iiiiPfiiil.num_vgpr, 64
	.set _ZL23ssm_conv_long_token_f32ILb0ELm128ELm9ELl32EEvPKfS1_S1_iiiiPfiiil.num_agpr, 0
	.set _ZL23ssm_conv_long_token_f32ILb0ELm128ELm9ELl32EEvPKfS1_S1_iiiiPfiiil.numbered_sgpr, 20
	.set _ZL23ssm_conv_long_token_f32ILb0ELm128ELm9ELl32EEvPKfS1_S1_iiiiPfiiil.num_named_barrier, 0
	.set _ZL23ssm_conv_long_token_f32ILb0ELm128ELm9ELl32EEvPKfS1_S1_iiiiPfiiil.private_seg_size, 0
	.set _ZL23ssm_conv_long_token_f32ILb0ELm128ELm9ELl32EEvPKfS1_S1_iiiiPfiiil.uses_vcc, 1
	.set _ZL23ssm_conv_long_token_f32ILb0ELm128ELm9ELl32EEvPKfS1_S1_iiiiPfiiil.uses_flat_scratch, 0
	.set _ZL23ssm_conv_long_token_f32ILb0ELm128ELm9ELl32EEvPKfS1_S1_iiiiPfiiil.has_dyn_sized_stack, 0
	.set _ZL23ssm_conv_long_token_f32ILb0ELm128ELm9ELl32EEvPKfS1_S1_iiiiPfiiil.has_recursion, 0
	.set _ZL23ssm_conv_long_token_f32ILb0ELm128ELm9ELl32EEvPKfS1_S1_iiiiPfiiil.has_indirect_call, 0
	.section	.AMDGPU.csdata,"",@progbits
; Kernel info:
; codeLenInByte = 6960
; TotalNumSgprs: 22
; NumVgprs: 64
; ScratchSize: 0
; MemoryBound: 0
; FloatMode: 240
; IeeeMode: 1
; LDSByteSize: 0 bytes/workgroup (compile time only)
; SGPRBlocks: 0
; VGPRBlocks: 3
; NumSGPRsForWavesPerEU: 22
; NumVGPRsForWavesPerEU: 64
; NamedBarCnt: 0
; Occupancy: 16
; WaveLimiterHint : 0
; COMPUTE_PGM_RSRC2:SCRATCH_EN: 0
; COMPUTE_PGM_RSRC2:USER_SGPR: 2
; COMPUTE_PGM_RSRC2:TRAP_HANDLER: 0
; COMPUTE_PGM_RSRC2:TGID_X_EN: 1
; COMPUTE_PGM_RSRC2:TGID_Y_EN: 1
; COMPUTE_PGM_RSRC2:TGID_Z_EN: 1
; COMPUTE_PGM_RSRC2:TIDIG_COMP_CNT: 0
	.section	.text._ZL12ssm_conv_f32ILb0ELm128ELm15EEvPKfS1_S1_iiiiPfiiil,"axG",@progbits,_ZL12ssm_conv_f32ILb0ELm128ELm15EEvPKfS1_S1_iiiiPfiiil,comdat
	.globl	_ZL12ssm_conv_f32ILb0ELm128ELm15EEvPKfS1_S1_iiiiPfiiil ; -- Begin function _ZL12ssm_conv_f32ILb0ELm128ELm15EEvPKfS1_S1_iiiiPfiiil
	.p2align	8
	.type	_ZL12ssm_conv_f32ILb0ELm128ELm15EEvPKfS1_S1_iiiiPfiiil,@function
_ZL12ssm_conv_f32ILb0ELm128ELm15EEvPKfS1_S1_iiiiPfiiil: ; @_ZL12ssm_conv_f32ILb0ELm128ELm15EEvPKfS1_S1_iiiiPfiiil
; %bb.0:
	s_load_b64 s[2:3], s[0:1], 0x10
	s_bfe_u32 s4, ttmp6, 0x40010
	s_bfe_u32 s5, ttmp6, 0x40004
	s_add_co_i32 s4, s4, 1
	s_getreg_b32 s11, hwreg(HW_REG_IB_STS2, 6, 4)
	s_mul_i32 s4, ttmp7, s4
	s_delay_alu instid0(SALU_CYCLE_1) | instskip(SKIP_2) | instid1(SALU_CYCLE_1)
	s_add_co_i32 s5, s5, s4
	s_cmp_eq_u32 s11, 0
	s_cselect_b32 s4, ttmp7, s5
	s_ashr_i32 s5, s4, 31
	s_delay_alu instid0(SALU_CYCLE_1)
	s_lshl_b64 s[12:13], s[4:5], 7
	s_wait_kmcnt 0x0
	s_cmp_eq_u64 s[2:3], 0
	s_cbranch_scc1 .LBB18_2
; %bb.1:
	s_lshl_b64 s[4:5], s[12:13], 2
	s_delay_alu instid0(SALU_CYCLE_1)
	s_add_nc_u64 s[2:3], s[2:3], s[4:5]
	global_load_b32 v36, v0, s[2:3] scale_offset
	s_wait_xcnt 0x0
	s_load_b64 s[2:3], s[0:1], 0x40
	s_wait_kmcnt 0x0
	v_cmp_lt_i64_e64 s4, s[2:3], 1
	s_and_b32 vcc_lo, exec_lo, s4
	s_cbranch_vccz .LBB18_3
	s_branch .LBB18_6
.LBB18_2:
	v_mov_b32_e32 v36, 0
	s_load_b64 s[2:3], s[0:1], 0x40
	s_wait_kmcnt 0x0
	v_cmp_lt_i64_e64 s4, s[2:3], 1
	s_and_b32 vcc_lo, exec_lo, s4
	s_cbranch_vccnz .LBB18_6
.LBB18_3:
	s_load_b96 s[8:10], s[0:1], 0x1c
	s_bfe_u32 s4, ttmp6, 0x4000c
	s_and_b32 s14, ttmp6, 15
	s_add_co_i32 s4, s4, 1
	s_delay_alu instid0(SALU_CYCLE_1)
	s_mul_i32 s15, ttmp9, s4
	s_load_b128 s[4:7], s[0:1], 0x0
	s_add_co_i32 s14, s14, s15
	s_wait_kmcnt 0x0
	s_ashr_i32 s15, s10, 31
	s_ashr_i32 s16, s10, 2
	s_cmp_eq_u32 s11, 0
	v_mul_lo_u32 v22, s16, v0
	s_cselect_b32 s17, ttmp9, s14
	s_ashr_i32 s11, s8, 2
	s_mov_b32 s14, s10
	v_mul_lo_u32 v24, s11, v0
	s_mul_u64 s[10:11], s[12:13], s[14:15]
	s_mul_i32 s14, s9, s17
	s_ashr_i32 s9, s8, 31
	s_ashr_i32 s15, s14, 31
	s_mul_u64 s[8:9], s[12:13], s[8:9]
	s_add_nc_u64 s[4:5], s[4:5], s[14:15]
	v_ashrrev_i32_e32 v23, 31, v22
	s_add_nc_u64 s[6:7], s[6:7], s[10:11]
	s_add_nc_u64 s[4:5], s[4:5], s[8:9]
	s_delay_alu instid0(VALU_DEP_2) | instskip(NEXT) | instid1(VALU_DEP_2)
	v_ashrrev_i32_e32 v25, 31, v24
	v_lshl_add_u64 v[38:39], v[22:23], 2, s[6:7]
	s_delay_alu instid0(VALU_DEP_2)
	v_lshl_add_u64 v[34:35], v[24:25], 2, s[4:5]
	global_load_b128 v[18:21], v[38:39], off
	global_load_b128 v[2:5], v[34:35], off
	global_load_b128 v[26:29], v[38:39], off offset:16
	global_load_b128 v[6:9], v[34:35], off offset:16
	;; [unrolled: 1-line block ×4, first 2 shown]
	global_load_b64 v[40:41], v[38:39], off offset:48
	s_clause 0x1
	global_load_b64 v[14:15], v[34:35], off offset:48
	global_load_b32 v16, v24, s[4:5] offset:56 scale_offset
	global_load_b32 v23, v22, s[6:7] offset:56 scale_offset
	s_wait_xcnt 0x0
	s_load_b96 s[4:6], s[0:1], 0x30
	s_wait_kmcnt 0x0
	s_mul_i32 s6, s6, s17
	s_load_b64 s[0:1], s[0:1], 0x28
	s_ashr_i32 s7, s6, 31
	s_ashr_i32 s11, s4, 31
	s_mov_b32 s10, s4
	s_cmp_eq_u64 s[2:3], 1
	s_wait_kmcnt 0x0
	s_add_nc_u64 s[8:9], s[0:1], s[6:7]
	s_mul_u64 s[6:7], s[12:13], s[10:11]
	s_mov_b32 s1, 0
	s_add_nc_u64 s[10:11], s[8:9], s[6:7]
	s_wait_loadcnt 0x9
	v_mov_b32_e32 v24, v21
	s_wait_loadcnt 0x8
	v_fma_f32 v1, v18, v2, 0
	s_wait_loadcnt 0x7
	v_dual_mov_b32 v25, v26 :: v_dual_mov_b32 v38, v5
	s_wait_loadcnt 0x6
	v_dual_mov_b32 v39, v6 :: v_dual_mov_b32 v26, v27
	v_dual_mov_b32 v43, v8 :: v_dual_fmac_f32 v1, v19, v3
	v_mov_b32_e32 v27, v28
	s_delay_alu instid0(VALU_DEP_3) | instskip(SKIP_4) | instid1(VALU_DEP_3)
	v_pk_mul_f32 v[38:39], v[24:25], v[38:39]
	v_dual_mov_b32 v42, v7 :: v_dual_mov_b32 v28, v29
	s_wait_loadcnt 0x3
	v_dual_fmac_f32 v1, v20, v4 :: v_dual_mov_b32 v22, v41
	v_mov_b32_e32 v29, v30
	v_pk_mul_f32 v[42:43], v[26:27], v[42:43]
	s_delay_alu instid0(VALU_DEP_3) | instskip(SKIP_2) | instid1(VALU_DEP_3)
	v_dual_mov_b32 v30, v31 :: v_dual_add_f32 v1, v1, v38
	v_dual_mov_b32 v38, v9 :: v_dual_mov_b32 v31, v32
	v_dual_mov_b32 v32, v33 :: v_dual_mov_b32 v33, v40
	v_dual_add_f32 v1, v1, v39 :: v_dual_mov_b32 v39, v10
	s_delay_alu instid0(VALU_DEP_1) | instskip(NEXT) | instid1(VALU_DEP_2)
	v_add_f32_e32 v1, v1, v42
	v_pk_mul_f32 v[38:39], v[28:29], v[38:39]
	s_delay_alu instid0(VALU_DEP_2) | instskip(NEXT) | instid1(VALU_DEP_1)
	v_dual_mov_b32 v42, v11 :: v_dual_add_f32 v1, v1, v43
	v_dual_mov_b32 v43, v12 :: v_dual_add_f32 v1, v1, v38
	s_delay_alu instid0(VALU_DEP_1) | instskip(SKIP_2) | instid1(VALU_DEP_3)
	v_pk_mul_f32 v[42:43], v[30:31], v[42:43]
	v_mov_b32_e32 v38, v13
	s_wait_loadcnt 0x2
	v_dual_add_f32 v1, v1, v39 :: v_dual_mov_b32 v39, v14
	s_delay_alu instid0(VALU_DEP_1) | instskip(NEXT) | instid1(VALU_DEP_2)
	v_add_f32_e32 v1, v1, v42
	v_pk_mul_f32 v[38:39], v[32:33], v[38:39]
	s_delay_alu instid0(VALU_DEP_2) | instskip(SKIP_1) | instid1(VALU_DEP_1)
	v_dual_mov_b32 v42, v15 :: v_dual_add_f32 v1, v1, v43
	s_wait_loadcnt 0x1
	v_dual_mov_b32 v43, v16 :: v_dual_add_f32 v1, v1, v38
	s_delay_alu instid0(VALU_DEP_1) | instskip(SKIP_1) | instid1(VALU_DEP_2)
	v_add_f32_e32 v1, v1, v39
	s_wait_loadcnt 0x0
	v_pk_mul_f32 v[38:39], v[22:23], v[42:43]
	s_delay_alu instid0(VALU_DEP_1) | instskip(NEXT) | instid1(VALU_DEP_1)
	v_add_f32_e32 v1, v1, v38
	v_add_f32_e32 v1, v1, v39
	s_delay_alu instid0(VALU_DEP_1)
	v_dual_add_f32 v17, v36, v1 :: v_dual_mov_b32 v1, 0
	global_store_b32 v0, v17, s[10:11] scale_offset
	s_cbranch_scc1 .LBB18_6
; %bb.4:
	s_ashr_i32 s4, s5, 2
	s_wait_xcnt 0x0
	v_lshlrev_b32_e32 v0, 2, v0
	s_ashr_i32 s5, s4, 31
	v_add_nc_u64_e32 v[34:35], 60, v[34:35]
	s_lshl_b64 s[4:5], s[4:5], 2
	s_add_nc_u64 s[2:3], s[2:3], -1
	s_add_nc_u64 s[10:11], s[6:7], s[4:5]
	s_mov_b64 s[6:7], 1
	s_add_nc_u64 s[10:11], s[8:9], s[10:11]
	s_mov_b64 s[8:9], 0
	v_add_nc_u64_e32 v[0:1], s[10:11], v[0:1]
	s_mov_b64 s[10:11], 15
	s_mov_b64 s[12:13], 14
	;; [unrolled: 1-line block ×16, first 2 shown]
.LBB18_5:                               ; =>This Inner Loop Header: Depth=1
	global_load_b32 v21, v[34:35], off
	s_mov_b64 s[30:31], 0xffffffff
	s_mov_b32 s64, s10
	s_and_b64 s[50:51], s[6:7], s[30:31]
	s_mov_b32 s65, s1
	s_mov_b32 s74, s12
	;; [unrolled: 1-line block ×3, first 2 shown]
	s_mul_u64 s[98:99], s[50:51], s[28:29]
	s_mov_b32 s80, s14
	s_mov_b32 s81, s1
	;; [unrolled: 1-line block ×4, first 2 shown]
	s_mul_u64 s[100:101], s[64:65], s[28:29]
	s_mov_b32 s58, s99
	s_mul_u64 s[98:99], s[74:75], s[28:29]
	s_mov_b32 s0, s7
	s_mov_b32 s86, s18
	;; [unrolled: 1-line block ×4, first 2 shown]
	s_mul_u64 s[100:101], s[80:81], s[28:29]
	s_mov_b32 s84, s99
	s_mul_u64 s[98:99], s[82:83], s[28:29]
	s_mul_u64 s[96:97], s[0:1], s[28:29]
	s_mov_b32 s90, s101
	s_mul_u64 s[100:101], s[0:1], s[34:35]
	s_mov_b32 s92, s99
	;; [unrolled: 2-line block ×3, first 2 shown]
	s_mov_b32 s59, s1
	s_mov_b32 s73, s1
	;; [unrolled: 1-line block ×3, first 2 shown]
	s_mul_u64 s[98:99], s[0:1], s[28:29]
	s_add_nc_u64 s[58:59], s[96:97], s[58:59]
	s_mul_u64 s[96:97], s[0:1], s[34:35]
	s_mov_b32 s0, s13
	s_add_nc_u64 s[72:73], s[98:99], s[72:73]
	s_mov_b32 s85, s1
	s_mul_u64 s[98:99], s[0:1], s[28:29]
	s_mul_u64 s[50:51], s[50:51], s[34:35]
	;; [unrolled: 1-line block ×3, first 2 shown]
	s_mov_b32 s46, s59
	s_mov_b32 s59, s1
	s_mul_u64 s[102:103], s[0:1], s[34:35]
	s_mov_b32 s0, s15
	s_mov_b32 s52, s73
	;; [unrolled: 1-line block ×4, first 2 shown]
	s_add_nc_u64 s[84:85], s[98:99], s[84:85]
	s_add_nc_u64 s[58:59], s[50:51], s[58:59]
	;; [unrolled: 1-line block ×3, first 2 shown]
	s_mul_u64 s[50:51], s[0:1], s[28:29]
	s_mul_u64 s[74:75], s[74:75], s[34:35]
	s_add_nc_u64 s[72:73], s[50:51], s[90:91]
	s_mov_b32 s54, s65
	s_mul_u64 s[64:65], s[0:1], s[34:35]
	s_mov_b32 s0, s17
	s_mov_b32 s56, s85
	;; [unrolled: 1-line block ×4, first 2 shown]
	s_add_nc_u64 s[74:75], s[74:75], s[84:85]
	s_mul_u64 s[84:85], s[0:1], s[28:29]
	s_mul_u64 s[80:81], s[80:81], s[34:35]
	s_mov_b32 s62, s73
	s_mov_b32 s73, s1
	;; [unrolled: 1-line block ×6, first 2 shown]
	s_add_nc_u64 s[84:85], s[84:85], s[92:93]
	s_mov_b32 s60, s75
	s_mul_u64 s[74:75], s[0:1], s[34:35]
	s_mov_b32 s0, s19
	s_add_nc_u64 s[72:73], s[80:81], s[72:73]
	s_mov_b32 s95, s1
	s_mul_u64 s[98:99], s[88:89], s[28:29]
	s_add_nc_u64 s[54:55], s[52:53], s[54:55]
	s_mul_u64 s[80:81], s[0:1], s[28:29]
	s_mul_u64 s[82:83], s[82:83], s[34:35]
	s_mov_b32 s68, s73
	s_mul_u64 s[72:73], s[0:1], s[34:35]
	s_mov_b32 s0, s21
	s_mov_b32 s66, s85
	;; [unrolled: 1-line block ×9, first 2 shown]
	s_add_nc_u64 s[80:81], s[80:81], s[94:95]
	s_add_nc_u64 s[54:55], s[96:97], s[54:55]
	;; [unrolled: 1-line block ×3, first 2 shown]
	s_mul_u64 s[84:85], s[0:1], s[28:29]
	s_mov_b32 s67, s1
	s_mov_b32 s71, s1
	s_add_nc_u64 s[46:47], s[46:47], s[48:49]
	s_mul_u64 s[48:49], s[90:91], s[28:29]
	s_add_nc_u64 s[84:85], s[84:85], s[98:99]
	s_mul_u64 s[86:87], s[86:87], s[34:35]
	s_mov_b32 s70, s83
	s_mul_u64 s[82:83], s[0:1], s[34:35]
	s_mov_b32 s0, s23
	s_mov_b32 s76, s81
	;; [unrolled: 1-line block ×3, first 2 shown]
	s_lshr_b64 s[54:55], s[54:55], 3
	s_mov_b32 s48, s49
	s_mov_b32 s49, s1
	s_add_nc_u64 s[80:81], s[86:87], s[80:81]
	s_mul_u64 s[86:87], s[0:1], s[28:29]
	s_mul_i32 s33, s54, 15
	s_add_nc_u64 s[54:55], s[66:67], s[70:71]
	s_mul_u64 s[66:67], s[88:89], s[34:35]
	s_mov_b32 s50, s85
	s_mov_b32 s85, s1
	;; [unrolled: 1-line block ×6, first 2 shown]
	s_add_nc_u64 s[46:47], s[100:101], s[46:47]
	s_mov_b32 s100, s26
	s_mov_b32 s101, s1
	s_add_nc_u64 s[48:49], s[86:87], s[48:49]
	s_mov_b32 s78, s81
	s_mul_u64 s[70:71], s[0:1], s[34:35]
	s_mov_b32 s0, s25
	s_add_nc_u64 s[66:67], s[66:67], s[84:85]
	s_mov_b32 s57, s1
	s_mov_b32 s61, s1
	;; [unrolled: 1-line block ×3, first 2 shown]
	s_add_nc_u64 s[62:63], s[62:63], s[68:69]
	s_mul_u64 s[68:69], s[100:101], s[28:29]
	s_lshr_b64 s[46:47], s[46:47], 3
	s_mul_u64 s[80:81], s[0:1], s[28:29]
	s_add_nc_u64 s[54:55], s[74:75], s[54:55]
	s_add_nc_u64 s[74:75], s[76:77], s[78:79]
	s_mul_u64 s[78:79], s[90:91], s[34:35]
	s_mov_b32 s58, s67
	s_mul_u64 s[66:67], s[0:1], s[34:35]
	s_mov_b32 s0, s27
	s_mov_b32 s52, s49
	;; [unrolled: 1-line block ×3, first 2 shown]
	s_mul_u64 s[96:97], s[94:95], s[28:29]
	s_add_nc_u64 s[60:61], s[56:57], s[60:61]
	s_mov_b32 s68, s69
	s_mov_b32 s69, s1
	s_mul_i32 s104, s46, 15
	s_add_nc_u64 s[46:47], s[64:65], s[62:63]
	s_mov_b32 s62, s36
	s_mov_b32 s63, s1
	;; [unrolled: 1-line block ×3, first 2 shown]
	s_add_nc_u64 s[78:79], s[78:79], s[48:49]
	s_mul_u64 s[48:49], s[0:1], s[28:29]
	s_mov_b32 s96, s97
	s_mov_b32 s97, s1
	s_add_nc_u64 s[60:61], s[102:103], s[60:61]
	s_mul_u64 s[64:65], s[62:63], s[28:29]
	s_add_nc_u64 s[68:69], s[48:49], s[68:69]
	s_mul_u64 s[48:49], s[76:77], s[28:29]
	s_mov_b32 s92, s79
	s_mul_u64 s[78:79], s[0:1], s[34:35]
	s_mov_b32 s0, s37
	s_mov_b32 s51, s1
	;; [unrolled: 1-line block ×5, first 2 shown]
	s_add_nc_u64 s[80:81], s[80:81], s[96:97]
	s_mov_b32 s90, s49
	s_lshr_b64 s[48:49], s[60:61], 3
	s_mov_b32 s96, s40
	s_mul_u64 s[60:61], s[0:1], s[28:29]
	s_add_nc_u64 s[50:51], s[50:51], s[58:59]
	s_mul_u64 s[58:59], s[94:95], s[34:35]
	s_mov_b32 s56, s81
	s_mov_b32 s81, s1
	s_add_nc_u64 s[64:65], s[60:61], s[64:65]
	s_mul_u64 s[60:61], s[96:97], s[28:29]
	s_add_nc_u64 s[72:73], s[72:73], s[74:75]
	s_add_nc_u64 s[58:59], s[58:59], s[80:81]
	s_mov_b32 s74, s61
	s_add_nc_u64 s[80:81], s[82:83], s[50:51]
	s_add_nc_u64 s[82:83], s[52:53], s[92:93]
	s_mul_u64 s[92:93], s[100:101], s[34:35]
	s_mul_u64 s[60:61], s[0:1], s[34:35]
	s_mov_b32 s0, s39
	s_mov_b32 s86, s69
	;; [unrolled: 1-line block ×4, first 2 shown]
	s_add_nc_u64 s[58:59], s[92:93], s[68:69]
	s_mul_u64 s[68:69], s[0:1], s[28:29]
	s_mov_b32 s75, s1
	s_add_nc_u64 s[68:69], s[68:69], s[90:91]
	s_mul_u64 s[90:91], s[62:63], s[34:35]
	s_mul_u64 s[62:63], s[0:1], s[34:35]
	s_mov_b32 s0, s41
	s_mov_b32 s94, s42
	s_lshr_b64 s[54:55], s[54:55], 3
	s_add_nc_u64 s[70:71], s[70:71], s[82:83]
	s_add_nc_u64 s[82:83], s[56:57], s[98:99]
	s_mov_b32 s102, s59
	s_mov_b32 s84, s65
	;; [unrolled: 1-line block ×3, first 2 shown]
	s_mul_u64 s[58:59], s[0:1], s[28:29]
	s_lshr_b64 s[46:47], s[46:47], 3
	s_lshr_b64 s[72:73], s[72:73], 3
	s_mul_i32 s52, s54, 15
	s_mul_u64 s[54:55], s[94:95], s[28:29]
	s_add_nc_u64 s[64:65], s[90:91], s[64:65]
	s_add_nc_u64 s[90:91], s[58:59], s[74:75]
	;; [unrolled: 1-line block ×3, first 2 shown]
	s_mul_u64 s[66:67], s[0:1], s[34:35]
	s_mov_b32 s0, s43
	s_mov_b32 s87, s1
	;; [unrolled: 1-line block ×3, first 2 shown]
	s_mul_i32 vcc_hi, s46, 15
	s_mul_i32 s30, s72, 15
	s_mov_b32 s72, s55
	s_mov_b32 s73, s1
	;; [unrolled: 1-line block ×3, first 2 shown]
	s_mul_u64 s[76:77], s[76:77], s[34:35]
	s_mov_b32 s88, s65
	s_mov_b32 s46, s69
	;; [unrolled: 1-line block ×3, first 2 shown]
	s_mul_u64 s[64:65], s[0:1], s[28:29]
	s_lshr_b64 s[70:71], s[70:71], 3
	s_mul_u64 s[58:59], s[98:99], s[28:29]
	s_add_nc_u64 s[82:83], s[86:87], s[102:103]
	s_add_nc_u64 s[86:87], s[76:77], s[68:69]
	;; [unrolled: 1-line block ×3, first 2 shown]
	s_lshr_b64 s[68:69], s[80:81], 3
	s_mul_i32 s56, s70, 15
	s_mov_b32 s80, s8
	s_mov_b32 s81, s1
	s_add_nc_u64 s[92:93], s[84:85], s[88:89]
	s_mul_u64 s[72:73], s[96:97], s[34:35]
	s_mul_u64 s[70:71], s[0:1], s[34:35]
	s_mov_b32 s0, s45
	s_mov_b32 s50, s91
	;; [unrolled: 1-line block ×3, first 2 shown]
	s_mul_i32 vcc_lo, s48, 15
	s_mov_b32 s47, s1
	s_mov_b32 s49, s1
	;; [unrolled: 1-line block ×3, first 2 shown]
	s_mul_i32 s31, s68, 15
	s_mul_u64 s[68:69], s[80:81], s[28:29]
	s_mov_b32 s48, s87
	s_add_nc_u64 s[90:91], s[72:73], s[90:91]
	s_mul_u64 s[72:73], s[0:1], s[28:29]
	s_add_nc_u64 s[60:61], s[60:61], s[92:93]
	s_mul_u64 s[92:93], s[0:1], s[34:35]
	s_mov_b32 s0, s9
	s_add_nc_u64 s[82:83], s[78:79], s[82:83]
	s_mov_b32 s78, s69
	s_mov_b32 s79, s1
	s_add_nc_u64 s[84:85], s[72:73], s[100:101]
	s_mul_u64 s[88:89], s[94:95], s[34:35]
	s_mov_b32 s54, s77
	s_mov_b32 s77, s1
	s_add_nc_u64 s[46:47], s[46:47], s[48:49]
	s_mul_u64 s[48:49], s[0:1], s[28:29]
	s_lshr_b64 s[74:75], s[74:75], 3
	s_mov_b32 s51, s1
	s_mul_u64 s[86:87], s[98:99], s[34:35]
	s_sub_co_i32 s97, s8, s52
	s_mov_b32 s52, s91
	s_add_nc_u64 s[76:77], s[88:89], s[76:77]
	s_mov_b32 s58, s85
	s_mov_b32 s85, s1
	s_add_nc_u64 s[48:49], s[48:49], s[78:79]
	s_mul_u64 s[90:91], s[0:1], s[34:35]
	s_sub_co_i32 s0, s8, s31
	s_mul_i32 s31, s74, 15
	s_lshr_b64 s[74:75], s[82:83], 3
	s_mov_b32 s55, s1
	s_mul_u64 s[80:81], s[80:81], s[34:35]
	s_sub_co_i32 s75, s8, s56
	s_add_nc_u64 s[46:47], s[62:63], s[46:47]
	s_add_nc_u64 s[50:51], s[50:51], s[52:53]
	s_mov_b32 s56, s77
	s_add_nc_u64 s[52:53], s[86:87], s[84:85]
	s_mov_b32 s68, s49
	s_mov_b32 s49, s1
	;; [unrolled: 1-line block ×4, first 2 shown]
	s_mul_i32 s72, s74, 15
	s_lshr_b64 s[46:47], s[46:47], 3
	s_add_nc_u64 s[50:51], s[66:67], s[50:51]
	s_add_nc_u64 s[54:55], s[54:55], s[56:57]
	s_mov_b32 s64, s53
	s_add_nc_u64 s[48:49], s[80:81], s[48:49]
	s_mov_b32 s69, s1
	s_mov_b32 s73, s1
	s_sub_co_i32 s56, s8, s72
	s_mul_i32 s57, s46, 15
	s_lshr_b64 s[46:47], s[50:51], 3
	s_add_nc_u64 s[50:51], s[70:71], s[54:55]
	s_add_nc_u64 s[52:53], s[58:59], s[64:65]
	s_mov_b32 s72, s49
	s_mul_i32 s55, s46, 15
	s_lshr_b64 s[46:47], s[50:51], 3
	s_add_nc_u64 s[48:49], s[92:93], s[52:53]
	s_add_nc_u64 s[50:51], s[68:69], s[72:73]
	s_mul_i32 s53, s46, 15
	s_lshr_b64 s[46:47], s[48:49], 3
	s_add_nc_u64 s[48:49], s[90:91], s[50:51]
	s_mul_i32 s51, s46, 15
	s_lshr_b64 s[46:47], s[48:49], 3
	s_sub_co_i32 s94, s8, s104
	s_mul_i32 s46, s46, -15
	s_sub_co_i32 s48, s8, s51
	s_add_co_i32 m0, s8, s46
	s_sub_co_i32 s47, s8, s53
	s_sub_co_i32 s50, s8, s55
	;; [unrolled: 1-line block ×3, first 2 shown]
	s_lshr_b64 s[60:61], s[60:61], 3
	s_sub_co_i32 s31, s8, s31
	s_mul_i32 s60, s60, 15
	s_sub_co_i32 s30, s8, s30
	s_sub_co_i32 s54, s8, s60
	s_sub_co_i32 s96, s8, vcc_hi
	s_sub_co_i32 s95, s8, vcc_lo
	s_wait_loadcnt 0x0
	v_movreld_b32_e32 v2, v21
	s_add_co_i32 m0, s94, 1
	s_sub_co_i32 s33, s8, s33
	v_movrels_b32_e32 v21, v2
	s_add_co_i32 m0, s48, 2
	s_wait_xcnt 0x0
	v_add_nc_u64_e32 v[34:35], 4, v[34:35]
	v_movrels_b32_e32 v37, v2
	s_add_co_i32 m0, s47, 3
	v_fma_f32 v21, v18, v21, 0
	v_movrels_b32_e32 v41, v2
	s_add_co_i32 m0, s50, 4
	s_add_nc_u64 s[8:9], s[8:9], 1
	v_movrels_b32_e32 v38, v2
	s_add_co_i32 m0, s52, 5
	v_fmac_f32_e32 v21, v19, v37
	v_movrels_b32_e32 v39, v2
	s_add_co_i32 m0, s54, 6
	s_add_nc_u64 s[6:7], s[6:7], 1
	v_movrels_b32_e32 v40, v2
	v_fmac_f32_e32 v21, v20, v41
	v_pk_mul_f32 v[38:39], v[24:25], v[38:39]
	s_add_co_i32 m0, s56, 7
	s_add_nc_u64 s[10:11], s[10:11], 1
	v_movrels_b32_e32 v41, v2
	s_add_co_i32 m0, s31, 8
	v_add_f32_e32 v21, v21, v38
	v_movrels_b32_e32 v38, v2
	s_add_co_i32 m0, s75, 9
	v_pk_mul_f32 v[40:41], v[26:27], v[40:41]
	s_add_nc_u64 s[12:13], s[12:13], 1
	v_add_f32_e32 v21, v21, v39
	v_movrels_b32_e32 v39, v2
	s_add_co_i32 m0, s0, 10
	s_add_nc_u64 s[14:15], s[14:15], 1
	s_add_nc_u64 s[16:17], s[16:17], 1
	v_add_f32_e32 v21, v21, v40
	v_pk_mul_f32 v[38:39], v[28:29], v[38:39]
	v_movrels_b32_e32 v40, v2
	s_add_co_i32 m0, s30, 11
	s_add_nc_u64 s[18:19], s[18:19], 1
	v_add_f32_e32 v21, v21, v41
	v_movrels_b32_e32 v41, v2
	s_add_co_i32 m0, s97, 12
	s_add_nc_u64 s[20:21], s[20:21], 1
	s_add_nc_u64 s[22:23], s[22:23], 1
	v_add_f32_e32 v21, v21, v38
	v_pk_mul_f32 v[40:41], v[30:31], v[40:41]
	v_movrels_b32_e32 v38, v2
	s_add_co_i32 m0, s96, 13
	;; [unrolled: 10-line block ×3, first 2 shown]
	s_add_nc_u64 s[38:39], s[38:39], 1
	v_add_f32_e32 v21, v21, v41
	v_movrels_b32_e32 v41, v2
	s_add_nc_u64 s[40:41], s[40:41], 1
	s_add_nc_u64 s[42:43], s[42:43], 1
	s_cmp_eq_u64 s[2:3], s[8:9]
	v_add_f32_e32 v21, v21, v38
	v_pk_mul_f32 v[40:41], v[22:23], v[40:41]
	s_add_nc_u64 s[44:45], s[44:45], 1
	s_delay_alu instid0(VALU_DEP_2) | instskip(NEXT) | instid1(VALU_DEP_1)
	v_add_f32_e32 v21, v21, v39
	v_add_f32_e32 v21, v21, v40
	s_delay_alu instid0(VALU_DEP_1) | instskip(NEXT) | instid1(VALU_DEP_1)
	v_add_f32_e32 v21, v21, v41
	v_add_f32_e32 v21, v36, v21
	global_store_b32 v[0:1], v21, off
	s_wait_xcnt 0x0
	v_add_nc_u64_e32 v[0:1], s[4:5], v[0:1]
	s_cbranch_scc0 .LBB18_5
.LBB18_6:
	s_endpgm
	.section	.rodata,"a",@progbits
	.p2align	6, 0x0
	.amdhsa_kernel _ZL12ssm_conv_f32ILb0ELm128ELm15EEvPKfS1_S1_iiiiPfiiil
		.amdhsa_group_segment_fixed_size 0
		.amdhsa_private_segment_fixed_size 0
		.amdhsa_kernarg_size 72
		.amdhsa_user_sgpr_count 2
		.amdhsa_user_sgpr_dispatch_ptr 0
		.amdhsa_user_sgpr_queue_ptr 0
		.amdhsa_user_sgpr_kernarg_segment_ptr 1
		.amdhsa_user_sgpr_dispatch_id 0
		.amdhsa_user_sgpr_kernarg_preload_length 0
		.amdhsa_user_sgpr_kernarg_preload_offset 0
		.amdhsa_user_sgpr_private_segment_size 0
		.amdhsa_wavefront_size32 1
		.amdhsa_uses_dynamic_stack 0
		.amdhsa_enable_private_segment 0
		.amdhsa_system_sgpr_workgroup_id_x 1
		.amdhsa_system_sgpr_workgroup_id_y 1
		.amdhsa_system_sgpr_workgroup_id_z 0
		.amdhsa_system_sgpr_workgroup_info 0
		.amdhsa_system_vgpr_workitem_id 0
		.amdhsa_next_free_vgpr 44
		.amdhsa_next_free_sgpr 105
		.amdhsa_named_barrier_count 0
		.amdhsa_reserve_vcc 1
		.amdhsa_float_round_mode_32 0
		.amdhsa_float_round_mode_16_64 0
		.amdhsa_float_denorm_mode_32 3
		.amdhsa_float_denorm_mode_16_64 3
		.amdhsa_fp16_overflow 0
		.amdhsa_memory_ordered 1
		.amdhsa_forward_progress 1
		.amdhsa_inst_pref_size 21
		.amdhsa_round_robin_scheduling 0
		.amdhsa_exception_fp_ieee_invalid_op 0
		.amdhsa_exception_fp_denorm_src 0
		.amdhsa_exception_fp_ieee_div_zero 0
		.amdhsa_exception_fp_ieee_overflow 0
		.amdhsa_exception_fp_ieee_underflow 0
		.amdhsa_exception_fp_ieee_inexact 0
		.amdhsa_exception_int_div_zero 0
	.end_amdhsa_kernel
	.section	.text._ZL12ssm_conv_f32ILb0ELm128ELm15EEvPKfS1_S1_iiiiPfiiil,"axG",@progbits,_ZL12ssm_conv_f32ILb0ELm128ELm15EEvPKfS1_S1_iiiiPfiiil,comdat
.Lfunc_end18:
	.size	_ZL12ssm_conv_f32ILb0ELm128ELm15EEvPKfS1_S1_iiiiPfiiil, .Lfunc_end18-_ZL12ssm_conv_f32ILb0ELm128ELm15EEvPKfS1_S1_iiiiPfiiil
                                        ; -- End function
	.set _ZL12ssm_conv_f32ILb0ELm128ELm15EEvPKfS1_S1_iiiiPfiiil.num_vgpr, 44
	.set _ZL12ssm_conv_f32ILb0ELm128ELm15EEvPKfS1_S1_iiiiPfiiil.num_agpr, 0
	.set _ZL12ssm_conv_f32ILb0ELm128ELm15EEvPKfS1_S1_iiiiPfiiil.numbered_sgpr, 105
	.set _ZL12ssm_conv_f32ILb0ELm128ELm15EEvPKfS1_S1_iiiiPfiiil.num_named_barrier, 0
	.set _ZL12ssm_conv_f32ILb0ELm128ELm15EEvPKfS1_S1_iiiiPfiiil.private_seg_size, 0
	.set _ZL12ssm_conv_f32ILb0ELm128ELm15EEvPKfS1_S1_iiiiPfiiil.uses_vcc, 1
	.set _ZL12ssm_conv_f32ILb0ELm128ELm15EEvPKfS1_S1_iiiiPfiiil.uses_flat_scratch, 0
	.set _ZL12ssm_conv_f32ILb0ELm128ELm15EEvPKfS1_S1_iiiiPfiiil.has_dyn_sized_stack, 0
	.set _ZL12ssm_conv_f32ILb0ELm128ELm15EEvPKfS1_S1_iiiiPfiiil.has_recursion, 0
	.set _ZL12ssm_conv_f32ILb0ELm128ELm15EEvPKfS1_S1_iiiiPfiiil.has_indirect_call, 0
	.section	.AMDGPU.csdata,"",@progbits
; Kernel info:
; codeLenInByte = 2608
; TotalNumSgprs: 107
; NumVgprs: 44
; ScratchSize: 0
; MemoryBound: 0
; FloatMode: 240
; IeeeMode: 1
; LDSByteSize: 0 bytes/workgroup (compile time only)
; SGPRBlocks: 0
; VGPRBlocks: 2
; NumSGPRsForWavesPerEU: 107
; NumVGPRsForWavesPerEU: 44
; NamedBarCnt: 0
; Occupancy: 16
; WaveLimiterHint : 0
; COMPUTE_PGM_RSRC2:SCRATCH_EN: 0
; COMPUTE_PGM_RSRC2:USER_SGPR: 2
; COMPUTE_PGM_RSRC2:TRAP_HANDLER: 0
; COMPUTE_PGM_RSRC2:TGID_X_EN: 1
; COMPUTE_PGM_RSRC2:TGID_Y_EN: 1
; COMPUTE_PGM_RSRC2:TGID_Z_EN: 0
; COMPUTE_PGM_RSRC2:TIDIG_COMP_CNT: 0
	.section	.text._ZL23ssm_conv_long_token_f32ILb0ELm128ELm15ELl32EEvPKfS1_S1_iiiiPfiiil,"axG",@progbits,_ZL23ssm_conv_long_token_f32ILb0ELm128ELm15ELl32EEvPKfS1_S1_iiiiPfiiil,comdat
	.globl	_ZL23ssm_conv_long_token_f32ILb0ELm128ELm15ELl32EEvPKfS1_S1_iiiiPfiiil ; -- Begin function _ZL23ssm_conv_long_token_f32ILb0ELm128ELm15ELl32EEvPKfS1_S1_iiiiPfiiil
	.p2align	8
	.type	_ZL23ssm_conv_long_token_f32ILb0ELm128ELm15ELl32EEvPKfS1_S1_iiiiPfiiil,@function
_ZL23ssm_conv_long_token_f32ILb0ELm128ELm15ELl32EEvPKfS1_S1_iiiiPfiiil: ; @_ZL23ssm_conv_long_token_f32ILb0ELm128ELm15ELl32EEvPKfS1_S1_iiiiPfiiil
; %bb.0:
	v_mul_u32_u24_e32 v1, 0x591, v0
	s_bfe_u32 s3, ttmp6, 0x40010
	s_and_b32 s2, ttmp7, 0xffff
	s_add_co_i32 s3, s3, 1
	s_bfe_u32 s8, ttmp6, 0x40004
	v_lshrrev_b32_e32 v1, 16, v1
	s_mul_i32 s3, s2, s3
	s_getreg_b32 s9, hwreg(HW_REG_IB_STS2, 6, 4)
	s_add_co_i32 s8, s8, s3
	s_clause 0x1
	s_load_b64 s[10:11], s[0:1], 0x0
	s_load_b128 s[4:7], s[0:1], 0x18
	v_mul_lo_u16 v2, v1, 46
	s_cmp_eq_u32 s9, 0
	s_cselect_b32 s2, s2, s8
	s_bfe_u32 s3, ttmp6, 0x40014
	s_delay_alu instid0(VALU_DEP_1)
	v_sub_nc_u16 v14, v0, v2
	s_lshr_b32 s8, ttmp7, 16
	s_add_co_i32 s3, s3, 1
	s_bfe_u32 s12, ttmp6, 0x40008
	s_mul_i32 s13, s8, s3
	v_or_b32_e32 v2, 0xffffff80, v14
	v_and_b32_e32 v31, 0xffff, v14
	s_add_co_i32 s12, s12, s13
	s_cmp_eq_u32 s9, 0
	s_mov_b32 s3, 0
	v_lshrrev_b16 v3, 1, v2
	s_cselect_b32 s8, s8, s12
	s_bfe_u32 s12, ttmp6, 0x4000c
	s_and_b32 s15, ttmp6, 15
	s_add_co_i32 s12, s12, 1
	v_and_b32_e32 v3, 0x7f, v3
	s_mul_i32 s12, ttmp9, s12
	s_wait_kmcnt 0x0
	s_mov_b32 s18, s4
	s_add_co_i32 s15, s15, s12
	s_cmp_eq_u32 s9, 0
	v_mul_lo_u16 v3, 0xb3, v3
	s_cselect_b32 s16, ttmp9, s15
	s_lshl_b32 s12, s8, 5
	s_ashr_i32 s8, s5, 2
	s_ashr_i32 s19, s4, 31
	v_lshrrev_b16 v16, 12, v3
	s_mul_i32 s4, s6, s16
	s_mov_b32 s14, s5
	s_lshl_b32 s2, s2, 7
	s_ashr_i32 s15, s5, 31
	v_mul_lo_u16 v3, v16, 46
	v_and_b32_e32 v16, 0xffff, v16
	s_ashr_i32 s5, s4, 31
	s_mov_b32 s13, s3
	s_mul_u64 s[14:15], s[2:3], s[14:15]
	v_sub_nc_u16 v15, v2, v3
	s_add_nc_u64 s[4:5], s[10:11], s[4:5]
	s_mul_u64 s[18:19], s[12:13], s[18:19]
	s_add_nc_u64 s[4:5], s[4:5], s[14:15]
	s_mov_b32 s6, exec_lo
	v_or_b32_e32 v2, 0xffffff80, v15
	v_and_b32_e32 v33, 0xff, v15
	s_add_nc_u64 s[4:5], s[4:5], s[18:19]
	s_delay_alu instid0(VALU_DEP_2) | instskip(NEXT) | instid1(VALU_DEP_1)
	v_lshrrev_b16 v3, 1, v2
	v_and_b32_e32 v3, 0x7f, v3
	s_delay_alu instid0(VALU_DEP_1) | instskip(NEXT) | instid1(VALU_DEP_1)
	v_mul_lo_u16 v3, 0xb3, v3
	v_lshrrev_b16 v17, 12, v3
	s_delay_alu instid0(VALU_DEP_1) | instskip(NEXT) | instid1(VALU_DEP_1)
	v_mul_lo_u16 v3, v17, 46
	v_sub_nc_u16 v19, v2, v3
	s_delay_alu instid0(VALU_DEP_1) | instskip(SKIP_1) | instid1(VALU_DEP_2)
	v_or_b32_e32 v2, 0xffffff80, v19
	v_and_b32_e32 v19, 0xff, v19
	v_lshrrev_b16 v3, 1, v2
	s_delay_alu instid0(VALU_DEP_1) | instskip(NEXT) | instid1(VALU_DEP_1)
	v_and_b32_e32 v3, 0x7f, v3
	v_mul_lo_u16 v3, 0xb3, v3
	s_delay_alu instid0(VALU_DEP_1) | instskip(NEXT) | instid1(VALU_DEP_1)
	v_lshrrev_b16 v20, 12, v3
	v_mul_lo_u16 v3, v20, 46
	v_and_b32_e32 v20, 0xffff, v20
	s_delay_alu instid0(VALU_DEP_2) | instskip(NEXT) | instid1(VALU_DEP_1)
	v_sub_nc_u16 v21, v2, v3
	v_or_b32_e32 v2, 0xffffff80, v21
	v_and_b32_e32 v21, 0xff, v21
	s_delay_alu instid0(VALU_DEP_2) | instskip(NEXT) | instid1(VALU_DEP_1)
	v_lshrrev_b16 v3, 1, v2
	v_and_b32_e32 v3, 0x7f, v3
	s_delay_alu instid0(VALU_DEP_1) | instskip(NEXT) | instid1(VALU_DEP_1)
	v_mul_lo_u16 v3, 0xb3, v3
	v_lshrrev_b16 v22, 12, v3
	s_delay_alu instid0(VALU_DEP_1) | instskip(SKIP_3) | instid1(VALU_DEP_4)
	v_mul_lo_u16 v3, v22, 46
	v_and_b32_e32 v22, 0xffff, v22
	v_add_nc_u32_e32 v32, v1, v16
	v_and_b32_e32 v16, 0xffff, v17
	v_sub_nc_u16 v23, v2, v3
	s_delay_alu instid0(VALU_DEP_2) | instskip(NEXT) | instid1(VALU_DEP_2)
	v_add_nc_u32_e32 v34, v32, v16
	v_or_b32_e32 v2, 0xffffff80, v23
	v_and_b32_e32 v23, 0xff, v23
	s_delay_alu instid0(VALU_DEP_3) | instskip(SKIP_1) | instid1(VALU_DEP_4)
	v_add_nc_u32_e32 v20, v34, v20
	v_mad_u32 v35, v34, s8, v19
	v_lshrrev_b16 v3, 1, v2
	v_lshlrev_b32_e32 v19, 2, v19
	v_mul_u32_u24_e32 v34, 0xb8, v34
	v_add_nc_u32_e32 v22, v20, v22
	v_mad_u32 v16, v32, s8, v33
	v_and_b32_e32 v3, 0x7f, v3
	v_lshlrev_b32_e32 v33, 2, v33
	s_delay_alu instid0(VALU_DEP_2) | instskip(NEXT) | instid1(VALU_DEP_1)
	v_mul_lo_u16 v3, 0xb3, v3
	v_lshrrev_b16 v24, 12, v3
	s_delay_alu instid0(VALU_DEP_1) | instskip(NEXT) | instid1(VALU_DEP_1)
	v_mul_lo_u16 v3, v24, 46
	v_sub_nc_u16 v25, v2, v3
	s_delay_alu instid0(VALU_DEP_1) | instskip(SKIP_1) | instid1(VALU_DEP_2)
	v_or_b32_e32 v2, 0xffffff80, v25
	v_and_b32_e32 v25, 0xff, v25
	v_lshrrev_b16 v3, 1, v2
	s_delay_alu instid0(VALU_DEP_1) | instskip(NEXT) | instid1(VALU_DEP_1)
	v_and_b32_e32 v3, 0x7f, v3
	v_mul_lo_u16 v3, 0xb3, v3
	s_delay_alu instid0(VALU_DEP_1) | instskip(NEXT) | instid1(VALU_DEP_1)
	v_lshrrev_b16 v26, 12, v3
	v_mul_lo_u16 v3, v26, 46
	s_delay_alu instid0(VALU_DEP_1) | instskip(NEXT) | instid1(VALU_DEP_1)
	v_sub_nc_u16 v27, v2, v3
	v_or_b32_e32 v2, 0xffffff80, v27
	v_and_b32_e32 v27, 0xff, v27
	s_delay_alu instid0(VALU_DEP_2) | instskip(NEXT) | instid1(VALU_DEP_1)
	v_lshrrev_b16 v3, 1, v2
	v_and_b32_e32 v3, 0x7f, v3
	s_delay_alu instid0(VALU_DEP_1) | instskip(NEXT) | instid1(VALU_DEP_1)
	v_mul_lo_u16 v3, 0xb3, v3
	v_lshrrev_b16 v28, 12, v3
	s_delay_alu instid0(VALU_DEP_1) | instskip(SKIP_1) | instid1(VALU_DEP_2)
	v_mul_lo_u16 v3, v28, 46
	v_and_b32_e32 v28, 0xffff, v28
	v_sub_nc_u16 v29, v2, v3
	s_delay_alu instid0(VALU_DEP_1) | instskip(SKIP_1) | instid1(VALU_DEP_2)
	v_or_b32_e32 v2, 0xffffff80, v29
	v_and_b32_e32 v29, 0xff, v29
	v_lshrrev_b16 v3, 1, v2
	s_delay_alu instid0(VALU_DEP_1) | instskip(NEXT) | instid1(VALU_DEP_1)
	v_and_b32_e32 v3, 0x7f, v3
	v_mul_lo_u16 v3, 0xb3, v3
	s_delay_alu instid0(VALU_DEP_1) | instskip(NEXT) | instid1(VALU_DEP_1)
	v_lshrrev_b16 v4, 12, v3
	v_mul_lo_u16 v3, v4, 46
	v_and_b32_e32 v4, 0xffff, v4
	s_delay_alu instid0(VALU_DEP_2) | instskip(NEXT) | instid1(VALU_DEP_1)
	v_sub_nc_u16 v2, v2, v3
	v_or_b32_e32 v3, 0xffffff80, v2
	v_and_b32_e32 v2, 0xff, v2
	s_delay_alu instid0(VALU_DEP_2) | instskip(NEXT) | instid1(VALU_DEP_1)
	v_lshrrev_b16 v5, 1, v3
	v_and_b32_e32 v5, 0x7f, v5
	s_delay_alu instid0(VALU_DEP_1) | instskip(NEXT) | instid1(VALU_DEP_1)
	v_mul_lo_u16 v5, 0xb3, v5
	v_lshrrev_b16 v6, 12, v5
	s_delay_alu instid0(VALU_DEP_1) | instskip(SKIP_1) | instid1(VALU_DEP_2)
	v_mul_lo_u16 v5, v6, 46
	v_and_b32_e32 v6, 0xffff, v6
	v_sub_nc_u16 v3, v3, v5
	s_delay_alu instid0(VALU_DEP_1) | instskip(SKIP_1) | instid1(VALU_DEP_2)
	v_or_b32_e32 v5, 0xffffff80, v3
	v_and_b32_e32 v3, 0xff, v3
	v_lshrrev_b16 v7, 1, v5
	s_delay_alu instid0(VALU_DEP_1) | instskip(NEXT) | instid1(VALU_DEP_1)
	v_and_b32_e32 v7, 0x7f, v7
	v_mul_lo_u16 v7, 0xb3, v7
	s_delay_alu instid0(VALU_DEP_1) | instskip(NEXT) | instid1(VALU_DEP_1)
	v_lshrrev_b16 v8, 12, v7
	v_mul_lo_u16 v7, v8, 46
	v_and_b32_e32 v8, 0xffff, v8
	s_delay_alu instid0(VALU_DEP_2) | instskip(NEXT) | instid1(VALU_DEP_1)
	v_sub_nc_u16 v5, v5, v7
	v_or_b32_e32 v7, 0xffffff80, v5
	s_delay_alu instid0(VALU_DEP_1) | instskip(NEXT) | instid1(VALU_DEP_1)
	v_lshrrev_b16 v9, 1, v7
	v_and_b32_e32 v9, 0x7f, v9
	s_delay_alu instid0(VALU_DEP_1) | instskip(NEXT) | instid1(VALU_DEP_1)
	v_mul_lo_u16 v9, 0xb3, v9
	v_lshrrev_b16 v9, 12, v9
	s_delay_alu instid0(VALU_DEP_1) | instskip(SKIP_1) | instid1(VALU_DEP_2)
	v_mul_lo_u16 v10, v9, 46
	v_and_b32_e32 v9, 0xffff, v9
	v_sub_nc_u16 v7, v7, v10
	s_delay_alu instid0(VALU_DEP_1) | instskip(NEXT) | instid1(VALU_DEP_1)
	v_or_b32_e32 v10, 0xffffff80, v7
	v_lshrrev_b16 v11, 1, v10
	s_delay_alu instid0(VALU_DEP_1) | instskip(NEXT) | instid1(VALU_DEP_1)
	v_and_b32_e32 v11, 0x7f, v11
	v_mul_lo_u16 v11, 0xb3, v11
	s_delay_alu instid0(VALU_DEP_1) | instskip(NEXT) | instid1(VALU_DEP_1)
	v_lshrrev_b16 v12, 12, v11
	v_mul_lo_u16 v11, v12, 46
	v_and_b32_e32 v12, 0xffff, v12
	s_delay_alu instid0(VALU_DEP_2) | instskip(NEXT) | instid1(VALU_DEP_1)
	v_sub_nc_u16 v11, v10, v11
	v_or_b32_e32 v10, 0xffffff80, v11
	v_and_b32_e32 v11, 0xff, v11
	s_delay_alu instid0(VALU_DEP_2) | instskip(NEXT) | instid1(VALU_DEP_1)
	v_lshrrev_b16 v13, 1, v10
	v_and_b32_e32 v13, 0x7f, v13
	s_delay_alu instid0(VALU_DEP_1) | instskip(NEXT) | instid1(VALU_DEP_1)
	v_mul_lo_u16 v13, 0xb3, v13
	v_lshrrev_b16 v13, 12, v13
	s_delay_alu instid0(VALU_DEP_1) | instskip(SKIP_1) | instid1(VALU_DEP_2)
	v_mul_lo_u16 v18, v13, 46
	v_and_b32_e32 v13, 0xffff, v13
	v_sub_nc_u16 v10, v10, v18
	s_delay_alu instid0(VALU_DEP_1) | instskip(SKIP_1) | instid1(VALU_DEP_2)
	v_or_b32_e32 v30, 0xffffff80, v10
	v_and_b32_e32 v10, 0xff, v10
	v_lshrrev_b16 v18, 1, v30
	s_delay_alu instid0(VALU_DEP_1) | instskip(NEXT) | instid1(VALU_DEP_1)
	v_and_b32_e32 v18, 0x7f, v18
	v_mul_lo_u16 v14, 0xb3, v18
	s_delay_alu instid0(VALU_DEP_1) | instskip(NEXT) | instid1(VALU_DEP_1)
	v_lshrrev_b16 v18, 12, v14
	v_mul_lo_u16 v14, v18, 46
	v_and_b32_e32 v18, 0xffff, v18
	s_delay_alu instid0(VALU_DEP_2) | instskip(SKIP_3) | instid1(VALU_DEP_4)
	v_sub_nc_u16 v14, v30, v14
	v_mad_u32 v30, s8, v1, v31
	v_lshlrev_b32_e32 v31, 2, v31
	v_mul_u32_u24_e32 v1, 0xb8, v1
	v_or_b32_e32 v17, 0xffffff80, v14
	v_and_b32_e32 v14, 0xff, v14
	s_delay_alu instid0(VALU_DEP_3) | instskip(SKIP_1) | instid1(VALU_DEP_4)
	v_add3_u32 v1, 0, v1, v31
	v_mul_u32_u24_e32 v31, 0xb8, v32
	v_lshrrev_b16 v15, 1, v17
	s_clause 0x2
	global_load_b32 v30, v30, s[4:5] scale_offset
	global_load_b32 v37, v16, s[4:5] scale_offset
	;; [unrolled: 1-line block ×3, first 2 shown]
	v_add3_u32 v31, 0, v31, v33
	v_and_b32_e32 v15, 0x7f, v15
	s_delay_alu instid0(VALU_DEP_1) | instskip(NEXT) | instid1(VALU_DEP_1)
	v_mul_lo_u16 v15, 0xb3, v15
	v_lshrrev_b16 v36, 12, v15
	v_mad_u32 v15, v20, s8, v21
	v_lshlrev_b32_e32 v21, 2, v21
	v_add3_u32 v19, 0, v34, v19
	s_wait_xcnt 0x1
	v_mul_lo_u16 v16, v36, 46
	s_wait_xcnt 0x0
	s_delay_alu instid0(VALU_DEP_1)
	v_sub_nc_u16 v35, v17, v16
	v_mad_u32 v16, v22, s8, v23
	global_load_b32 v39, v15, s[4:5] scale_offset
	v_lshlrev_b32_e32 v23, 2, v23
	global_load_b32 v40, v16, s[4:5] scale_offset
	s_wait_xcnt 0x1
	v_or_b32_e32 v15, 0xffffff80, v35
	s_delay_alu instid0(VALU_DEP_1) | instskip(SKIP_1) | instid1(VALU_DEP_1)
	v_lshrrev_b16 v17, 1, v15
	s_wait_xcnt 0x0
	v_and_b32_e32 v16, 0x7f, v17
	s_delay_alu instid0(VALU_DEP_1) | instskip(NEXT) | instid1(VALU_DEP_1)
	v_mul_lo_u16 v16, 0xb3, v16
	v_lshrrev_b16 v41, 12, v16
	v_and_b32_e32 v16, 0xffff, v24
	s_delay_alu instid0(VALU_DEP_2) | instskip(NEXT) | instid1(VALU_DEP_2)
	v_mul_lo_u16 v17, v41, 46
	v_add_nc_u32_e32 v24, v22, v16
	v_mul_u32_u24_e32 v22, 0xb8, v22
	s_delay_alu instid0(VALU_DEP_3) | instskip(SKIP_1) | instid1(VALU_DEP_4)
	v_sub_nc_u16 v42, v15, v17
	v_and_b32_e32 v15, 0xffff, v26
	v_mad_u32 v44, v24, s8, v25
	v_lshlrev_b32_e32 v25, 2, v25
	s_delay_alu instid0(VALU_DEP_4) | instskip(NEXT) | instid1(VALU_DEP_4)
	v_or_b32_e32 v26, 0xffffff80, v42
	v_add_nc_u32_e32 v43, v24, v15
	v_mul_u32_u24_e32 v20, 0xb8, v20
	v_mul_u32_u24_e32 v24, 0xb8, v24
	s_delay_alu instid0(VALU_DEP_4) | instskip(NEXT) | instid1(VALU_DEP_4)
	v_lshrrev_b16 v15, 1, v26
	v_mad_u32 v45, v43, s8, v27
	v_add_nc_u32_e32 v28, v43, v28
	v_add3_u32 v20, 0, v20, v21
	v_add3_u32 v21, 0, v22, v23
	v_and_b32_e32 v15, 0x7f, v15
	v_mul_lo_u32 v22, 0xb8, v43
	v_dual_lshlrev_b32 v27, 2, v27 :: v_dual_add_nc_u32 v4, v28, v4
	s_clause 0x1
	global_load_b32 v16, v44, s[4:5] scale_offset
	global_load_b32 v17, v45, s[4:5] scale_offset
	v_mul_lo_u16 v15, 0xb3, v15
	s_wait_xcnt 0x0
	v_mad_u32 v45, v28, s8, v29
	v_add3_u32 v24, 0, v24, v25
	v_mul_lo_u32 v25, 0xb8, v28
	v_add_nc_u32_e32 v6, v4, v6
	v_lshrrev_b16 v44, 12, v15
	v_add3_u32 v22, 0, v22, v27
	s_delay_alu instid0(VALU_DEP_3) | instskip(NEXT) | instid1(VALU_DEP_3)
	v_dual_lshlrev_b32 v27, 2, v29 :: v_dual_add_nc_u32 v8, v6, v8
	v_mul_lo_u16 v15, v44, 46
	v_mad_u32 v33, v6, s8, v3
	v_mul_lo_u32 v6, 0xb8, v6
	s_delay_alu instid0(VALU_DEP_4) | instskip(NEXT) | instid1(VALU_DEP_4)
	v_add_nc_u32_e32 v9, v8, v9
	v_sub_nc_u16 v26, v26, v15
	global_load_b32 v15, v45, s[4:5] scale_offset
	v_add3_u32 v25, 0, v25, v27
	v_mad_u32 v27, v4, s8, v2
	v_mul_lo_u32 v4, 0xb8, v4
	v_or_b32_e32 v46, 0xffffff80, v26
	v_and_b32_e32 v26, 0xff, v26
	v_lshlrev_b32_e32 v2, 2, v2
	s_wait_xcnt 0x0
	s_delay_alu instid0(VALU_DEP_3) | instskip(NEXT) | instid1(VALU_DEP_1)
	v_lshrrev_b16 v45, 1, v46
	v_and_b32_e32 v45, 0x7f, v45
	s_delay_alu instid0(VALU_DEP_3) | instskip(NEXT) | instid1(VALU_DEP_2)
	v_add3_u32 v2, 0, v4, v2
	v_mul_lo_u16 v45, 0xb3, v45
	s_delay_alu instid0(VALU_DEP_1) | instskip(NEXT) | instid1(VALU_DEP_1)
	v_lshrrev_b16 v45, 12, v45
	v_mul_lo_u16 v47, v45, 46
	s_delay_alu instid0(VALU_DEP_1) | instskip(NEXT) | instid1(VALU_DEP_1)
	v_sub_nc_u16 v46, v46, v47
	v_or_b32_e32 v47, 0xffffff80, v46
	s_delay_alu instid0(VALU_DEP_1) | instskip(NEXT) | instid1(VALU_DEP_1)
	v_lshrrev_b16 v48, 1, v47
	v_and_b32_e32 v48, 0x7f, v48
	s_delay_alu instid0(VALU_DEP_1) | instskip(NEXT) | instid1(VALU_DEP_1)
	v_mul_lo_u16 v48, 0xb3, v48
	v_lshrrev_b16 v48, 12, v48
	s_delay_alu instid0(VALU_DEP_1) | instskip(NEXT) | instid1(VALU_DEP_1)
	v_mul_lo_u16 v49, v48, 46
	v_sub_nc_u16 v47, v47, v49
	s_delay_alu instid0(VALU_DEP_1) | instskip(NEXT) | instid1(VALU_DEP_1)
	v_or_b32_e32 v49, 0xffffff80, v47
	v_lshrrev_b16 v50, 1, v49
	s_delay_alu instid0(VALU_DEP_1) | instskip(NEXT) | instid1(VALU_DEP_1)
	v_and_b32_e32 v50, 0x7f, v50
	v_mul_lo_u16 v50, 0xb3, v50
	s_delay_alu instid0(VALU_DEP_1) | instskip(NEXT) | instid1(VALU_DEP_1)
	v_lshrrev_b16 v50, 12, v50
	v_mul_lo_u16 v51, v50, 46
	v_and_b32_e32 v50, 0xffff, v50
	s_delay_alu instid0(VALU_DEP_2) | instskip(NEXT) | instid1(VALU_DEP_1)
	v_sub_nc_u16 v49, v49, v51
	v_or_b32_e32 v51, 0xffffff80, v49
	v_and_b32_e32 v49, 0xff, v49
	s_delay_alu instid0(VALU_DEP_2) | instskip(NEXT) | instid1(VALU_DEP_1)
	v_lshrrev_b16 v52, 1, v51
	v_and_b32_e32 v52, 0x7f, v52
	s_delay_alu instid0(VALU_DEP_1) | instskip(NEXT) | instid1(VALU_DEP_1)
	v_mul_lo_u16 v52, 0xb3, v52
	v_lshrrev_b16 v52, 12, v52
	s_delay_alu instid0(VALU_DEP_1) | instskip(NEXT) | instid1(VALU_DEP_1)
	v_mul_lo_u16 v53, v52, 46
	v_sub_nc_u16 v51, v51, v53
	s_delay_alu instid0(VALU_DEP_1) | instskip(SKIP_1) | instid1(VALU_DEP_2)
	v_or_b32_e32 v53, 0xffffff80, v51
	v_and_b32_e32 v51, 0xff, v51
	v_lshrrev_b16 v54, 1, v53
	s_delay_alu instid0(VALU_DEP_1) | instskip(NEXT) | instid1(VALU_DEP_1)
	v_and_b32_e32 v54, 0x7f, v54
	v_mul_lo_u16 v54, 0xb3, v54
	s_delay_alu instid0(VALU_DEP_1) | instskip(NEXT) | instid1(VALU_DEP_1)
	v_lshrrev_b16 v54, 12, v54
	v_mul_lo_u16 v55, v54, 46
	s_delay_alu instid0(VALU_DEP_1) | instskip(NEXT) | instid1(VALU_DEP_1)
	v_sub_nc_u16 v53, v53, v55
	v_or_b32_e32 v55, 0xffffff80, v53
	v_and_b32_e32 v53, 0xff, v53
	s_delay_alu instid0(VALU_DEP_2) | instskip(NEXT) | instid1(VALU_DEP_1)
	v_lshrrev_b16 v32, 1, v55
	v_and_b32_e32 v32, 0x7f, v32
	s_delay_alu instid0(VALU_DEP_1) | instskip(NEXT) | instid1(VALU_DEP_1)
	v_mul_lo_u16 v32, 0xb3, v32
	v_lshrrev_b16 v23, 12, v32
	s_delay_alu instid0(VALU_DEP_1) | instskip(SKIP_1) | instid1(VALU_DEP_2)
	v_mul_lo_u16 v32, v23, 46
	v_and_b32_e32 v23, 0xffff, v23
	v_sub_nc_u16 v28, v55, v32
	s_delay_alu instid0(VALU_DEP_1)
	v_or_b32_e32 v29, 0xffffff80, v28
	v_and_b32_e32 v28, 0xff, v28
	s_wait_loadcnt 0x7
	ds_store_b32 v1, v30
	s_wait_loadcnt 0x6
	ds_store_b32 v31, v37
	;; [unrolled: 2-line block ×3, first 2 shown]
	v_and_b32_e32 v19, 0xffff, v36
	v_lshrrev_b16 v32, 1, v29
	v_add_nc_u32_e32 v12, v9, v12
	v_and_b32_e32 v1, 0xff, v5
	v_and_b32_e32 v5, 0xff, v7
	v_lshlrev_b32_e32 v3, 2, v3
	v_and_b32_e32 v32, 0x7f, v32
	v_add_nc_u32_e32 v13, v12, v13
	v_mad_u32 v30, v8, s8, v1
	v_mul_lo_u32 v8, 0xb8, v8
	v_lshlrev_b32_e32 v1, 2, v1
	v_mul_lo_u16 v7, 0xb3, v32
	v_add_nc_u32_e32 v18, v13, v18
	v_mad_u32 v32, v9, s8, v5
	v_mul_lo_u32 v9, 0xb8, v9
	v_lshlrev_b32_e32 v5, 2, v5
	v_lshrrev_b16 v7, 12, v7
	v_add_nc_u32_e32 v19, v18, v19
	v_mad_u32 v34, v12, s8, v11
	v_mul_lo_u32 v12, 0xb8, v12
	v_lshlrev_b32_e32 v11, 2, v11
	v_mul_lo_u16 v43, v7, 46
	v_and_b32_e32 v7, 0xffff, v7
	v_add3_u32 v3, 0, v6, v3
	v_mul_lo_u32 v6, 0xb8, v13
	v_add3_u32 v1, 0, v8, v1
	v_sub_nc_u16 v29, v29, v43
	s_clause 0x4
	global_load_b32 v31, v27, s[4:5] scale_offset
	global_load_b32 v36, v33, s[4:5] scale_offset
	;; [unrolled: 1-line block ×5, first 2 shown]
	s_wait_loadcnt 0x9
	ds_store_b32 v20, v39
	s_wait_xcnt 0x2
	v_and_b32_e32 v30, 0xffff, v41
	v_and_b32_e32 v33, 0xffff, v44
	v_or_b32_e32 v27, 0xffffff80, v29
	s_wait_xcnt 0x1
	v_mad_u32 v32, v13, s8, v10
	s_wait_loadcnt 0x8
	ds_store_b32 v21, v40
	v_and_b32_e32 v21, 0xff, v35
	v_and_b32_e32 v35, 0xffff, v45
	v_lshrrev_b16 v20, 1, v27
	v_add_nc_u32_e32 v30, v19, v30
	v_and_b32_e32 v40, 0xff, v42
	v_and_b32_e32 v42, 0xffff, v48
	s_wait_xcnt 0x0
	v_mad_u32 v34, v18, s8, v14
	v_and_b32_e32 v20, 0x7f, v20
	v_add_nc_u32_e32 v33, v30, v33
	v_mad_u32 v39, v19, s8, v21
	v_and_b32_e32 v41, 0xff, v46
	v_and_b32_e32 v29, 0xff, v29
	v_mul_lo_u16 v20, 0xb3, v20
	v_add_nc_u32_e32 v35, v33, v35
	v_mad_u32 v44, v30, s8, v40
	v_add3_u32 v4, 0, v9, v5
	v_add3_u32 v5, 0, v12, v11
	v_lshrrev_b16 v20, 12, v20
	v_add_nc_u32_e32 v42, v35, v42
	v_mad_u32 v46, v33, s8, v26
	v_mad_u32 v48, v35, s8, v41
	v_mul_lo_u32 v11, 0xb8, v35
	v_mul_lo_u16 v45, v20, 46
	v_dual_lshlrev_b32 v8, 2, v21 :: v_dual_lshlrev_b32 v9, 2, v40
	s_delay_alu instid0(VALU_DEP_2)
	v_sub_nc_u16 v27, v27, v45
	s_clause 0x2
	global_load_b32 v45, v32, s[4:5] scale_offset
	global_load_b32 v55, v34, s[4:5] scale_offset
	;; [unrolled: 1-line block ×3, first 2 shown]
	s_wait_xcnt 0x2
	v_and_b32_e32 v32, 0xff, v47
	s_wait_xcnt 0x1
	v_add_nc_u32_e32 v34, v42, v50
	s_wait_xcnt 0x0
	v_and_b32_e32 v39, 0xffff, v52
	v_or_b32_e32 v47, 0xffffff80, v27
	s_clause 0x2
	global_load_b32 v50, v44, s[4:5] scale_offset
	global_load_b32 v52, v46, s[4:5] scale_offset
	;; [unrolled: 1-line block ×3, first 2 shown]
	s_wait_xcnt 0x2
	v_and_b32_e32 v44, 0xffff, v54
	s_wait_loadcnt 0xd
	ds_store_b32 v24, v16
	s_wait_loadcnt 0xc
	ds_store_b32 v22, v17
	s_wait_xcnt 0x1
	v_lshrrev_b16 v46, 1, v47
	v_and_b32_e32 v16, 0xffff, v20
	v_add_nc_u32_e32 v39, v34, v39
	s_wait_xcnt 0x0
	v_mad_u32 v48, v42, s8, v32
	v_and_b32_e32 v27, 0xff, v27
	v_and_b32_e32 v46, 0x7f, v46
	v_add_nc_u32_e32 v44, v39, v44
	v_mad_u32 v54, v34, s8, v49
	s_delay_alu instid0(VALU_DEP_3) | instskip(NEXT) | instid1(VALU_DEP_3)
	v_mul_lo_u16 v46, 0xb3, v46
	v_add_nc_u32_e32 v23, v44, v23
	v_mad_u32 v59, v44, s8, v53
	s_delay_alu instid0(VALU_DEP_3) | instskip(NEXT) | instid1(VALU_DEP_1)
	v_lshrrev_b16 v46, 12, v46
	v_mul_lo_u16 v17, v46, 46
	v_and_b32_e32 v46, 0xffff, v46
	v_add_nc_u32_e32 v7, v23, v7
	s_delay_alu instid0(VALU_DEP_3) | instskip(NEXT) | instid1(VALU_DEP_2)
	v_sub_nc_u16 v17, v47, v17
	v_add_nc_u32_e32 v16, v7, v16
	v_mad_u32 v58, v39, s8, v51
	s_clause 0x3
	global_load_b32 v20, v48, s[4:5] scale_offset
	global_load_b32 v22, v54, s[4:5] scale_offset
	;; [unrolled: 1-line block ×4, first 2 shown]
	v_add_nc_u32_e32 v46, v16, v46
	v_and_b32_e32 v47, 0xff, v17
	s_wait_loadcnt 0xf
	ds_store_b32 v25, v15
	v_mad_u32 v15, v23, s8, v28
	v_mad_u32 v25, v7, s8, v29
	s_wait_xcnt 0x3
	v_mad_u32 v48, v16, s8, v27
	s_wait_xcnt 0x2
	v_mad_u32 v54, v46, s8, v47
	s_clause 0x3
	global_load_b32 v58, v15, s[4:5] scale_offset
	global_load_b32 v59, v25, s[4:5] scale_offset
	;; [unrolled: 1-line block ×4, first 2 shown]
	s_wait_loadcnt 0x12
	ds_store_b32 v2, v31
	s_wait_loadcnt 0x11
	ds_store_b32 v3, v36
	;; [unrolled: 2-line block ×5, first 2 shown]
	v_mul_lo_u32 v2, 0xb8, v18
	v_lshlrev_b32_e32 v1, 2, v10
	v_mul_lo_u32 v3, 0xb8, v19
	v_mul_lo_u32 v4, 0xb8, v30
	;; [unrolled: 1-line block ×3, first 2 shown]
	v_lshlrev_b32_e32 v10, 2, v26
	v_add3_u32 v1, 0, v6, v1
	v_lshlrev_b32_e32 v6, 2, v14
	s_wait_loadcnt 0xd
	ds_store_b32 v1, v45
	v_add3_u32 v1, 0, v2, v6
	v_add3_u32 v2, 0, v3, v8
	v_add3_u32 v3, 0, v4, v9
	v_add3_u32 v4, 0, v5, v10
	v_lshlrev_b32_e32 v5, 2, v41
	s_wait_loadcnt 0xc
	ds_store_b32 v1, v55
	s_wait_loadcnt 0xb
	ds_store_b32 v2, v56
	s_wait_loadcnt 0xa
	ds_store_b32 v3, v50
	s_wait_loadcnt 0x9
	ds_store_b32 v4, v52
	v_mul_lo_u32 v2, 0xb8, v42
	v_mul_lo_u32 v3, 0xb8, v34
	;; [unrolled: 1-line block ×3, first 2 shown]
	v_add3_u32 v1, 0, v11, v5
	v_or_b32_e32 v5, 0xffffff80, v17
	v_lshlrev_b32_e32 v8, 2, v49
	v_mul_lo_u32 v6, 0xb8, v44
	v_dual_lshlrev_b32 v10, 2, v51 :: v_dual_lshlrev_b32 v11, 2, v53
	s_wait_loadcnt 0x8
	ds_store_b32 v1, v57
	v_lshlrev_b32_e32 v1, 2, v32
	v_lshrrev_b16 v9, 1, v5
	v_add3_u32 v4, 0, v4, v10
	v_lshlrev_b32_e32 v10, 2, v47
	s_delay_alu instid0(VALU_DEP_4)
	v_add3_u32 v1, 0, v2, v1
	v_add3_u32 v2, 0, v3, v8
	v_and_b32_e32 v3, 0x7f, v9
	v_mul_lo_u32 v8, 0xb8, v23
	v_add3_u32 v6, 0, v6, v11
	s_wait_loadcnt 0x7
	ds_store_b32 v1, v20
	v_mul_lo_u16 v1, 0xb3, v3
	s_wait_loadcnt 0x6
	ds_store_b32 v2, v22
	s_wait_loadcnt 0x5
	ds_store_b32 v4, v24
	;; [unrolled: 2-line block ×3, first 2 shown]
	v_lshlrev_b32_e32 v2, 2, v28
	v_mul_lo_u32 v3, 0xb8, v7
	v_lshrrev_b16 v1, 12, v1
	v_mul_lo_u32 v4, 0xb8, v16
	v_mul_lo_u32 v6, 0xb8, v46
	v_add3_u32 v7, 0, v8, v2
	v_lshlrev_b32_e32 v8, 2, v29
	v_mul_lo_u16 v2, v1, 46
	v_and_b32_e32 v1, 0xffff, v1
	v_lshlrev_b32_e32 v9, 2, v27
	s_delay_alu instid0(VALU_DEP_3) | instskip(NEXT) | instid1(VALU_DEP_3)
	v_sub_nc_u16 v2, v5, v2
	v_add_nc_u32_e32 v1, v46, v1
	v_add3_u32 v3, 0, v3, v8
	s_delay_alu instid0(VALU_DEP_4)
	v_add3_u32 v4, 0, v4, v9
	v_add3_u32 v5, 0, v6, v10
	v_and_b32_e32 v2, 0xff, v2
	s_wait_loadcnt 0x3
	ds_store_b32 v7, v58
	s_wait_loadcnt 0x2
	ds_store_b32 v3, v59
	;; [unrolled: 2-line block ×4, first 2 shown]
	v_cmpx_gt_u32_e32 0x80, v1
	s_cbranch_execz .LBB19_2
; %bb.1:
	v_mad_u32 v3, v1, s8, v2
	v_mul_lo_u32 v4, 0xb8, v1
	v_lshlrev_b32_e32 v5, 2, v2
	global_load_b32 v3, v3, s[4:5] scale_offset
	v_add3_u32 v4, 0, v4, v5
	s_wait_loadcnt 0x0
	ds_store_b32 v4, v3
.LBB19_2:
	s_or_b32 exec_lo, exec_lo, s6
	v_or_b32_e32 v2, 0xffffff80, v2
	s_mov_b32 s6, exec_lo
	s_delay_alu instid0(VALU_DEP_1) | instskip(NEXT) | instid1(VALU_DEP_1)
	v_lshrrev_b16 v3, 1, v2
	v_and_b32_e32 v3, 0x7f, v3
	s_delay_alu instid0(VALU_DEP_1) | instskip(NEXT) | instid1(VALU_DEP_1)
	v_mul_lo_u16 v3, 0xb3, v3
	v_lshrrev_b16 v3, 12, v3
	s_delay_alu instid0(VALU_DEP_1) | instskip(SKIP_1) | instid1(VALU_DEP_2)
	v_mul_lo_u16 v4, v3, 46
	v_and_b32_e32 v3, 0xffff, v3
	v_sub_nc_u16 v2, v2, v4
	s_delay_alu instid0(VALU_DEP_2) | instskip(NEXT) | instid1(VALU_DEP_2)
	v_add_nc_u32_e32 v1, v1, v3
	v_and_b32_e32 v2, 0xff, v2
	s_delay_alu instid0(VALU_DEP_2)
	v_cmpx_gt_u32_e32 0x80, v1
	s_cbranch_execz .LBB19_4
; %bb.3:
	s_delay_alu instid0(VALU_DEP_2)
	v_mad_u32 v3, v1, s8, v2
	v_mul_lo_u32 v4, 0xb8, v1
	v_lshlrev_b32_e32 v5, 2, v2
	global_load_b32 v3, v3, s[4:5] scale_offset
	v_add3_u32 v4, 0, v4, v5
	s_wait_loadcnt 0x0
	ds_store_b32 v4, v3
.LBB19_4:
	s_or_b32 exec_lo, exec_lo, s6
	s_delay_alu instid0(VALU_DEP_2) | instskip(SKIP_1) | instid1(VALU_DEP_1)
	v_or_b32_e32 v2, 0xffffff80, v2
	s_mov_b32 s6, exec_lo
	v_lshrrev_b16 v3, 1, v2
	s_delay_alu instid0(VALU_DEP_1) | instskip(NEXT) | instid1(VALU_DEP_1)
	v_and_b32_e32 v3, 0x7f, v3
	v_mul_lo_u16 v3, 0xb3, v3
	s_delay_alu instid0(VALU_DEP_1) | instskip(NEXT) | instid1(VALU_DEP_1)
	v_lshrrev_b16 v3, 12, v3
	v_mul_lo_u16 v4, v3, 46
	v_and_b32_e32 v3, 0xffff, v3
	s_delay_alu instid0(VALU_DEP_2) | instskip(NEXT) | instid1(VALU_DEP_2)
	v_sub_nc_u16 v2, v2, v4
	v_add_nc_u32_e32 v1, v1, v3
	s_delay_alu instid0(VALU_DEP_2) | instskip(NEXT) | instid1(VALU_DEP_2)
	v_and_b32_e32 v2, 0xff, v2
	v_cmpx_gt_u32_e32 0x80, v1
	s_cbranch_execz .LBB19_6
; %bb.5:
	s_delay_alu instid0(VALU_DEP_2)
	v_mad_u32 v3, v1, s8, v2
	v_mul_lo_u32 v4, 0xb8, v1
	v_lshlrev_b32_e32 v5, 2, v2
	global_load_b32 v3, v3, s[4:5] scale_offset
	v_add3_u32 v4, 0, v4, v5
	s_wait_loadcnt 0x0
	ds_store_b32 v4, v3
.LBB19_6:
	s_or_b32 exec_lo, exec_lo, s6
	s_delay_alu instid0(VALU_DEP_2) | instskip(SKIP_1) | instid1(VALU_DEP_1)
	v_or_b32_e32 v2, 0xffffff80, v2
	s_mov_b32 s6, exec_lo
	v_lshrrev_b16 v3, 1, v2
	s_delay_alu instid0(VALU_DEP_1) | instskip(NEXT) | instid1(VALU_DEP_1)
	v_and_b32_e32 v3, 0x7f, v3
	v_mul_lo_u16 v3, 0xb3, v3
	s_delay_alu instid0(VALU_DEP_1) | instskip(NEXT) | instid1(VALU_DEP_1)
	v_lshrrev_b16 v3, 12, v3
	v_mul_lo_u16 v4, v3, 46
	v_and_b32_e32 v3, 0xffff, v3
	s_delay_alu instid0(VALU_DEP_2) | instskip(NEXT) | instid1(VALU_DEP_2)
	v_sub_nc_u16 v2, v2, v4
	v_add_nc_u32_e32 v1, v1, v3
	s_delay_alu instid0(VALU_DEP_2) | instskip(NEXT) | instid1(VALU_DEP_2)
	v_and_b32_e32 v2, 0xff, v2
	;; [unrolled: 29-line block ×10, first 2 shown]
	v_cmpx_gt_u32_e32 0x80, v1
	s_cbranch_execz .LBB19_24
; %bb.23:
	s_delay_alu instid0(VALU_DEP_2)
	v_mad_u32 v3, v1, s8, v2
	v_mul_lo_u32 v4, 0xb8, v1
	v_lshlrev_b32_e32 v5, 2, v2
	global_load_b32 v3, v3, s[4:5] scale_offset
	v_add3_u32 v4, 0, v4, v5
	s_wait_loadcnt 0x0
	ds_store_b32 v4, v3
.LBB19_24:
	s_or_b32 exec_lo, exec_lo, s6
	s_delay_alu instid0(SALU_CYCLE_1)
	s_mov_b32 s6, exec_lo
	v_cmpx_gt_u32_e32 0x380, v0
	s_cbranch_execz .LBB19_45
; %bb.25:
	v_or_b32_e32 v2, 0xffffff80, v2
	s_mov_b32 s9, exec_lo
	s_delay_alu instid0(VALU_DEP_1) | instskip(NEXT) | instid1(VALU_DEP_1)
	v_lshrrev_b16 v3, 1, v2
	v_and_b32_e32 v3, 0x7f, v3
	s_delay_alu instid0(VALU_DEP_1) | instskip(NEXT) | instid1(VALU_DEP_1)
	v_mul_lo_u16 v3, 0xb3, v3
	v_lshrrev_b16 v3, 12, v3
	s_delay_alu instid0(VALU_DEP_1) | instskip(SKIP_1) | instid1(VALU_DEP_2)
	v_mul_lo_u16 v4, v3, 46
	v_and_b32_e32 v3, 0xffff, v3
	v_sub_nc_u16 v2, v2, v4
	s_delay_alu instid0(VALU_DEP_2) | instskip(NEXT) | instid1(VALU_DEP_2)
	v_add_nc_u32_e32 v1, v1, v3
	v_and_b32_e32 v2, 0xff, v2
	s_delay_alu instid0(VALU_DEP_2)
	v_cmpx_gt_u32_e32 0x80, v1
	s_cbranch_execz .LBB19_27
; %bb.26:
	s_delay_alu instid0(VALU_DEP_2)
	v_mad_u32 v3, v1, s8, v2
	v_mul_lo_u32 v4, 0xb8, v1
	v_lshlrev_b32_e32 v5, 2, v2
	global_load_b32 v3, v3, s[4:5] scale_offset
	v_add3_u32 v4, 0, v4, v5
	s_wait_loadcnt 0x0
	ds_store_b32 v4, v3
.LBB19_27:
	s_or_b32 exec_lo, exec_lo, s9
	v_cmp_gt_u32_e32 vcc_lo, 0x300, v0
	s_and_b32 exec_lo, exec_lo, vcc_lo
	s_cbranch_execz .LBB19_45
; %bb.28:
	v_or_b32_e32 v2, 0xffffff80, v2
	s_mov_b32 s9, exec_lo
	s_delay_alu instid0(VALU_DEP_1) | instskip(NEXT) | instid1(VALU_DEP_1)
	v_lshrrev_b16 v3, 1, v2
	v_and_b32_e32 v3, 0x7f, v3
	s_delay_alu instid0(VALU_DEP_1) | instskip(NEXT) | instid1(VALU_DEP_1)
	v_mul_lo_u16 v3, 0xb3, v3
	v_lshrrev_b16 v3, 12, v3
	s_delay_alu instid0(VALU_DEP_1) | instskip(SKIP_1) | instid1(VALU_DEP_2)
	v_mul_lo_u16 v4, v3, 46
	v_and_b32_e32 v3, 0xffff, v3
	v_sub_nc_u16 v2, v2, v4
	s_delay_alu instid0(VALU_DEP_2) | instskip(NEXT) | instid1(VALU_DEP_2)
	v_add_nc_u32_e32 v1, v1, v3
	v_and_b32_e32 v2, 0xff, v2
	s_delay_alu instid0(VALU_DEP_2)
	v_cmpx_gt_u32_e32 0x80, v1
	s_cbranch_execz .LBB19_30
; %bb.29:
	s_delay_alu instid0(VALU_DEP_2)
	v_mad_u32 v3, v1, s8, v2
	v_mul_lo_u32 v4, 0xb8, v1
	v_lshlrev_b32_e32 v5, 2, v2
	global_load_b32 v3, v3, s[4:5] scale_offset
	v_add3_u32 v4, 0, v4, v5
	s_wait_loadcnt 0x0
	ds_store_b32 v4, v3
.LBB19_30:
	s_or_b32 exec_lo, exec_lo, s9
	v_cmp_gt_u32_e32 vcc_lo, 0x280, v0
	s_and_b32 exec_lo, exec_lo, vcc_lo
	;; [unrolled: 33-line block ×6, first 2 shown]
	s_cbranch_execz .LBB19_45
; %bb.43:
	v_or_b32_e32 v2, 0x80, v2
	s_delay_alu instid0(VALU_DEP_1) | instskip(NEXT) | instid1(VALU_DEP_1)
	v_lshrrev_b16 v3, 1, v2
	v_mul_lo_u16 v3, 0xb3, v3
	s_delay_alu instid0(VALU_DEP_1) | instskip(NEXT) | instid1(VALU_DEP_1)
	v_lshrrev_b16 v3, 12, v3
	v_and_b32_e32 v4, 0xffff, v3
	s_delay_alu instid0(VALU_DEP_1) | instskip(NEXT) | instid1(VALU_DEP_1)
	v_add_nc_u32_e32 v1, v1, v4
	v_cmp_gt_u32_e32 vcc_lo, 0x80, v1
	s_and_b32 exec_lo, exec_lo, vcc_lo
	s_cbranch_execz .LBB19_45
; %bb.44:
	v_mul_lo_u16 v3, v3, 46
	s_delay_alu instid0(VALU_DEP_1) | instskip(NEXT) | instid1(VALU_DEP_1)
	v_sub_nc_u16 v2, v2, v3
	v_and_b32_e32 v2, 0xff, v2
	s_delay_alu instid0(VALU_DEP_1)
	v_mad_u32 v3, v1, s8, v2
	v_mul_lo_u32 v1, 0xb8, v1
	v_lshlrev_b32_e32 v2, 2, v2
	global_load_b32 v3, v3, s[4:5] scale_offset
	v_add3_u32 v1, 0, v1, v2
	s_wait_loadcnt 0x0
	ds_store_b32 v1, v3
.LBB19_45:
	s_or_b32 exec_lo, exec_lo, s6
	s_clause 0x1
	s_load_b128 s[8:11], s[0:1], 0x8
	s_load_b64 s[14:15], s[0:1], 0x28
	s_ashr_i32 s4, s7, 2
	s_ashr_i32 s5, s7, 31
	v_mul_lo_u32 v14, s4, v0
	s_mov_b32 s4, s7
	s_wait_dscnt 0x0
	s_mul_u64 s[4:5], s[2:3], s[4:5]
	s_barrier_signal -1
	s_barrier_wait -1
	s_delay_alu instid0(VALU_DEP_1) | instskip(SKIP_3) | instid1(VALU_DEP_1)
	v_ashrrev_i32_e32 v15, 31, v14
	s_wait_kmcnt 0x0
	s_add_nc_u64 s[4:5], s[8:9], s[4:5]
	s_cmp_eq_u64 s[10:11], 0
	v_lshl_add_u64 v[16:17], v[14:15], 2, s[4:5]
	s_clause 0x4
	global_load_b64 v[28:29], v[16:17], off offset:48
	global_load_b128 v[6:9], v[16:17], off offset:32
	global_load_b128 v[10:13], v[16:17], off offset:16
	global_load_b32 v15, v14, s[4:5] offset:56 scale_offset
	global_load_b128 v[2:5], v[16:17], off
	s_cbranch_scc1 .LBB19_47
; %bb.46:
	s_wait_xcnt 0x1
	s_lshl_b64 s[4:5], s[2:3], 2
	s_delay_alu instid0(SALU_CYCLE_1)
	s_add_nc_u64 s[4:5], s[10:11], s[4:5]
	global_load_b32 v16, v0, s[4:5] scale_offset
	s_branch .LBB19_48
.LBB19_47:
	s_wait_xcnt 0x0
	v_mov_b32_e32 v16, 0
.LBB19_48:
	s_wait_xcnt 0x0
	s_load_b64 s[4:5], s[0:1], 0x40
	s_wait_kmcnt 0x0
	s_sub_nc_u64 s[4:5], s[4:5], s[12:13]
	s_delay_alu instid0(SALU_CYCLE_1)
	v_cmp_lt_i64_e64 s6, s[4:5], 1
	s_and_b32 vcc_lo, exec_lo, s6
	s_cbranch_vccnz .LBB19_56
; %bb.49:
	v_min_u64 v[30:31], s[4:5], 32
	s_load_b96 s[8:10], s[0:1], 0x30
	s_wait_loadcnt 0x0
	v_dual_mov_b32 v18, v5 :: v_dual_mov_b32 v19, v10
	v_dual_mov_b32 v20, v11 :: v_dual_mov_b32 v21, v12
	;; [unrolled: 1-line block ×6, first 2 shown]
	v_mul_u32_u24_e32 v54, 0xb8, v0
	v_lshlrev_b32_e32 v0, 2, v0
	s_wait_kmcnt 0x0
	s_mul_i32 s10, s10, s16
	s_ashr_i32 s7, s9, 31
	s_ashr_i32 s17, s8, 31
	;; [unrolled: 1-line block ×4, first 2 shown]
	s_cmp_eq_u64 s[4:5], 1
	s_mov_b32 s6, s9
	s_cselect_b32 s1, -1, 0
	s_cmp_lg_u32 s0, 1
	s_mov_b32 s16, s8
	s_cselect_b32 s8, -1, 0
	s_mul_u64 s[4:5], s[12:13], s[6:7]
	s_mul_u64 s[6:7], s[2:3], s[16:17]
	v_readfirstlane_b32 s2, v30
	v_readfirstlane_b32 s3, v31
	s_or_b32 s1, s1, s8
	s_add_nc_u64 s[8:9], s[14:15], s[10:11]
	s_and_b32 vcc_lo, exec_lo, s1
	s_cbranch_vccnz .LBB19_53
; %bb.50:
	v_dual_mov_b32 v30, v2 :: v_dual_add_nc_u32 v55, 0, v54
	s_add_nc_u64 s[10:11], s[8:9], s[4:5]
	v_dual_mov_b32 v31, v2 :: v_dual_mov_b32 v34, v3
	ds_load_2addr_b32 v[50:51], v55 offset1:1
	s_add_nc_u64 s[10:11], s[10:11], s[6:7]
	v_dual_mov_b32 v35, v3 :: v_dual_mov_b32 v36, v4
	v_add_nc_u64_e32 v[32:33], s[10:11], v[0:1]
	v_dual_mov_b32 v37, v4 :: v_dual_mov_b32 v38, v18
	v_dual_mov_b32 v39, v5 :: v_dual_mov_b32 v40, v10
	;; [unrolled: 1-line block ×10, first 2 shown]
	v_mov_b32_e32 v17, v16
	s_and_b64 s[10:11], s[2:3], 62
	s_delay_alu instid0(SALU_CYCLE_1)
	s_mov_b64 s[12:13], s[10:11]
.LBB19_51:                              ; =>This Inner Loop Header: Depth=1
	ds_load_2addr_b32 v[56:57], v55 offset0:1 offset1:2
	ds_load_2addr_b32 v[58:59], v55 offset0:3 offset1:4
	s_wait_dscnt 0x2
	v_pk_fma_f32 v[50:51], v[30:31], v[50:51], 0 op_sel_hi:[1,1,0]
	v_add_nc_u32_e32 v1, 8, v55
	s_add_nc_u64 s[12:13], s[12:13], -2
	s_delay_alu instid0(SALU_CYCLE_1)
	s_cmp_lg_u64 s[12:13], 0
	s_wait_dscnt 0x1
	v_pk_fma_f32 v[56:57], v[34:35], v[56:57], v[50:51]
	ds_load_2addr_b32 v[50:51], v55 offset0:2 offset1:3
	s_wait_dscnt 0x0
	v_pk_fma_f32 v[56:57], v[36:37], v[50:51], v[56:57]
	s_delay_alu instid0(VALU_DEP_1)
	v_pk_fma_f32 v[56:57], v[38:39], v[58:59], v[56:57]
	ds_load_2addr_b32 v[58:59], v55 offset0:4 offset1:5
	s_wait_dscnt 0x0
	v_pk_fma_f32 v[56:57], v[40:41], v[58:59], v[56:57]
	ds_load_2addr_b32 v[58:59], v55 offset0:5 offset1:6
	s_wait_dscnt 0x0
	;; [unrolled: 3-line block ×10, first 2 shown]
	v_pk_fma_f32 v[56:57], v[28:29], v[58:59], v[56:57]
	ds_load_2addr_b32 v[58:59], v55 offset0:14 offset1:15
	v_mov_b32_e32 v55, v1
	s_wait_dscnt 0x0
	v_pk_fma_f32 v[56:57], v[52:53], v[58:59], v[56:57]
	s_delay_alu instid0(VALU_DEP_1)
	v_pk_add_f32 v[56:57], v[16:17], v[56:57]
	global_store_b64 v[32:33], v[56:57], off
	s_wait_xcnt 0x0
	v_add_nc_u64_e32 v[32:33], 8, v[32:33]
	s_cbranch_scc1 .LBB19_51
; %bb.52:
	s_cmp_lg_u64 s[2:3], s[10:11]
	s_cselect_b32 s1, -1, 0
	s_delay_alu instid0(SALU_CYCLE_1)
	s_and_b32 vcc_lo, exec_lo, s1
	s_cbranch_vccnz .LBB19_54
	s_branch .LBB19_56
.LBB19_53:
	s_mov_b64 s[10:11], 0
	s_cbranch_execz .LBB19_56
.LBB19_54:
	s_lshl_b32 s1, s10, 2
	s_add_nc_u64 s[4:5], s[6:7], s[4:5]
	v_add3_u32 v5, 0, s1, v54
	s_ashr_i32 s1, s0, 31
	v_mov_b32_e32 v1, 0
	s_mul_u64 s[12:13], s[10:11], s[0:1]
	s_sub_nc_u64 s[2:3], s[2:3], s[10:11]
	ds_load_b32 v6, v5
	s_lshl_b64 s[6:7], s[12:13], 2
	s_lshl_b64 s[0:1], s[0:1], 2
	s_add_nc_u64 s[4:5], s[4:5], s[6:7]
	s_delay_alu instid0(SALU_CYCLE_1) | instskip(NEXT) | instid1(SALU_CYCLE_1)
	s_add_nc_u64 s[4:5], s[8:9], s[4:5]
	v_add_nc_u64_e32 v[0:1], s[4:5], v[0:1]
.LBB19_55:                              ; =>This Inner Loop Header: Depth=1
	s_wait_dscnt 0x0
	v_fma_f32 v17, v2, v6, 0
	ds_load_2addr_b32 v[6:7], v5 offset0:1 offset1:2
	ds_load_2addr_b32 v[8:9], v5 offset0:3 offset1:4
	;; [unrolled: 1-line block ×5, first 2 shown]
	s_add_nc_u64 s[2:3], s[2:3], -1
	s_delay_alu instid0(SALU_CYCLE_1)
	s_cmp_lg_u64 s[2:3], 0
	s_wait_dscnt 0x4
	v_fmac_f32_e32 v17, v3, v6
	s_wait_dscnt 0x3
	v_pk_mul_f32 v[8:9], v[18:19], v[8:9]
	s_wait_dscnt 0x2
	v_pk_mul_f32 v[10:11], v[20:21], v[10:11]
	;; [unrolled: 2-line block ×3, first 2 shown]
	v_fmac_f32_e32 v17, v4, v7
	s_delay_alu instid0(VALU_DEP_1) | instskip(NEXT) | instid1(VALU_DEP_1)
	v_add_f32_e32 v7, v17, v8
	v_add_f32_e32 v7, v7, v9
	ds_load_2addr_b32 v[8:9], v5 offset0:11 offset1:12
	v_add_f32_e32 v7, v7, v10
	s_delay_alu instid0(VALU_DEP_1) | instskip(SKIP_4) | instid1(VALU_DEP_1)
	v_add_f32_e32 v7, v7, v11
	ds_load_2addr_b32 v[10:11], v5 offset0:13 offset1:14
	s_wait_dscnt 0x2
	v_pk_mul_f32 v[28:29], v[24:25], v[28:29]
	v_dual_add_nc_u32 v5, 4, v5 :: v_dual_add_f32 v7, v7, v12
	v_add_f32_e32 v7, v7, v13
	s_wait_dscnt 0x1
	v_pk_mul_f32 v[8:9], v[26:27], v[8:9]
	s_delay_alu instid0(VALU_DEP_2) | instskip(NEXT) | instid1(VALU_DEP_1)
	v_add_f32_e32 v7, v7, v28
	v_add_f32_e32 v7, v7, v29
	s_wait_dscnt 0x0
	v_pk_mul_f32 v[10:11], v[14:15], v[10:11]
	s_delay_alu instid0(VALU_DEP_2) | instskip(NEXT) | instid1(VALU_DEP_1)
	v_add_f32_e32 v7, v7, v8
	v_add_f32_e32 v7, v7, v9
	s_delay_alu instid0(VALU_DEP_1) | instskip(NEXT) | instid1(VALU_DEP_1)
	v_add_f32_e32 v7, v7, v10
	v_add_f32_e32 v7, v7, v11
	s_delay_alu instid0(VALU_DEP_1)
	v_add_f32_e32 v7, v16, v7
	global_store_b32 v[0:1], v7, off
	s_wait_xcnt 0x0
	v_add_nc_u64_e32 v[0:1], s[0:1], v[0:1]
	s_cbranch_scc1 .LBB19_55
.LBB19_56:
	s_endpgm
	.section	.rodata,"a",@progbits
	.p2align	6, 0x0
	.amdhsa_kernel _ZL23ssm_conv_long_token_f32ILb0ELm128ELm15ELl32EEvPKfS1_S1_iiiiPfiiil
		.amdhsa_group_segment_fixed_size 0
		.amdhsa_private_segment_fixed_size 0
		.amdhsa_kernarg_size 72
		.amdhsa_user_sgpr_count 2
		.amdhsa_user_sgpr_dispatch_ptr 0
		.amdhsa_user_sgpr_queue_ptr 0
		.amdhsa_user_sgpr_kernarg_segment_ptr 1
		.amdhsa_user_sgpr_dispatch_id 0
		.amdhsa_user_sgpr_kernarg_preload_length 0
		.amdhsa_user_sgpr_kernarg_preload_offset 0
		.amdhsa_user_sgpr_private_segment_size 0
		.amdhsa_wavefront_size32 1
		.amdhsa_uses_dynamic_stack 0
		.amdhsa_enable_private_segment 0
		.amdhsa_system_sgpr_workgroup_id_x 1
		.amdhsa_system_sgpr_workgroup_id_y 1
		.amdhsa_system_sgpr_workgroup_id_z 1
		.amdhsa_system_sgpr_workgroup_info 0
		.amdhsa_system_vgpr_workitem_id 0
		.amdhsa_next_free_vgpr 63
		.amdhsa_next_free_sgpr 20
		.amdhsa_named_barrier_count 0
		.amdhsa_reserve_vcc 1
		.amdhsa_float_round_mode_32 0
		.amdhsa_float_round_mode_16_64 0
		.amdhsa_float_denorm_mode_32 3
		.amdhsa_float_denorm_mode_16_64 3
		.amdhsa_fp16_overflow 0
		.amdhsa_memory_ordered 1
		.amdhsa_forward_progress 1
		.amdhsa_inst_pref_size 71
		.amdhsa_round_robin_scheduling 0
		.amdhsa_exception_fp_ieee_invalid_op 0
		.amdhsa_exception_fp_denorm_src 0
		.amdhsa_exception_fp_ieee_div_zero 0
		.amdhsa_exception_fp_ieee_overflow 0
		.amdhsa_exception_fp_ieee_underflow 0
		.amdhsa_exception_fp_ieee_inexact 0
		.amdhsa_exception_int_div_zero 0
	.end_amdhsa_kernel
	.section	.text._ZL23ssm_conv_long_token_f32ILb0ELm128ELm15ELl32EEvPKfS1_S1_iiiiPfiiil,"axG",@progbits,_ZL23ssm_conv_long_token_f32ILb0ELm128ELm15ELl32EEvPKfS1_S1_iiiiPfiiil,comdat
.Lfunc_end19:
	.size	_ZL23ssm_conv_long_token_f32ILb0ELm128ELm15ELl32EEvPKfS1_S1_iiiiPfiiil, .Lfunc_end19-_ZL23ssm_conv_long_token_f32ILb0ELm128ELm15ELl32EEvPKfS1_S1_iiiiPfiiil
                                        ; -- End function
	.set _ZL23ssm_conv_long_token_f32ILb0ELm128ELm15ELl32EEvPKfS1_S1_iiiiPfiiil.num_vgpr, 63
	.set _ZL23ssm_conv_long_token_f32ILb0ELm128ELm15ELl32EEvPKfS1_S1_iiiiPfiiil.num_agpr, 0
	.set _ZL23ssm_conv_long_token_f32ILb0ELm128ELm15ELl32EEvPKfS1_S1_iiiiPfiiil.numbered_sgpr, 20
	.set _ZL23ssm_conv_long_token_f32ILb0ELm128ELm15ELl32EEvPKfS1_S1_iiiiPfiiil.num_named_barrier, 0
	.set _ZL23ssm_conv_long_token_f32ILb0ELm128ELm15ELl32EEvPKfS1_S1_iiiiPfiiil.private_seg_size, 0
	.set _ZL23ssm_conv_long_token_f32ILb0ELm128ELm15ELl32EEvPKfS1_S1_iiiiPfiiil.uses_vcc, 1
	.set _ZL23ssm_conv_long_token_f32ILb0ELm128ELm15ELl32EEvPKfS1_S1_iiiiPfiiil.uses_flat_scratch, 0
	.set _ZL23ssm_conv_long_token_f32ILb0ELm128ELm15ELl32EEvPKfS1_S1_iiiiPfiiil.has_dyn_sized_stack, 0
	.set _ZL23ssm_conv_long_token_f32ILb0ELm128ELm15ELl32EEvPKfS1_S1_iiiiPfiiil.has_recursion, 0
	.set _ZL23ssm_conv_long_token_f32ILb0ELm128ELm15ELl32EEvPKfS1_S1_iiiiPfiiil.has_indirect_call, 0
	.section	.AMDGPU.csdata,"",@progbits
; Kernel info:
; codeLenInByte = 9032
; TotalNumSgprs: 22
; NumVgprs: 63
; ScratchSize: 0
; MemoryBound: 0
; FloatMode: 240
; IeeeMode: 1
; LDSByteSize: 0 bytes/workgroup (compile time only)
; SGPRBlocks: 0
; VGPRBlocks: 3
; NumSGPRsForWavesPerEU: 22
; NumVGPRsForWavesPerEU: 63
; NamedBarCnt: 0
; Occupancy: 16
; WaveLimiterHint : 0
; COMPUTE_PGM_RSRC2:SCRATCH_EN: 0
; COMPUTE_PGM_RSRC2:USER_SGPR: 2
; COMPUTE_PGM_RSRC2:TRAP_HANDLER: 0
; COMPUTE_PGM_RSRC2:TGID_X_EN: 1
; COMPUTE_PGM_RSRC2:TGID_Y_EN: 1
; COMPUTE_PGM_RSRC2:TGID_Z_EN: 1
; COMPUTE_PGM_RSRC2:TIDIG_COMP_CNT: 0
	.section	.AMDGPU.gpr_maximums,"",@progbits
	.set amdgpu.max_num_vgpr, 0
	.set amdgpu.max_num_agpr, 0
	.set amdgpu.max_num_sgpr, 0
	.section	.AMDGPU.csdata,"",@progbits
	.type	__hip_cuid_cf9d291f016d279c,@object ; @__hip_cuid_cf9d291f016d279c
	.section	.bss,"aw",@nobits
	.globl	__hip_cuid_cf9d291f016d279c
__hip_cuid_cf9d291f016d279c:
	.byte	0                               ; 0x0
	.size	__hip_cuid_cf9d291f016d279c, 1

	.ident	"AMD clang version 22.0.0git (https://github.com/RadeonOpenCompute/llvm-project roc-7.2.4 26084 f58b06dce1f9c15707c5f808fd002e18c2accf7e)"
	.section	".note.GNU-stack","",@progbits
	.addrsig
	.addrsig_sym __hip_cuid_cf9d291f016d279c
	.amdgpu_metadata
---
amdhsa.kernels:
  - .args:
      - .address_space:  global
        .offset:         0
        .size:           8
        .value_kind:     global_buffer
      - .address_space:  global
        .offset:         8
        .size:           8
        .value_kind:     global_buffer
      - .address_space:  global
        .offset:         16
        .size:           8
        .value_kind:     global_buffer
      - .offset:         24
        .size:           4
        .value_kind:     by_value
      - .offset:         28
        .size:           4
        .value_kind:     by_value
      - .offset:         32
        .size:           4
        .value_kind:     by_value
      - .offset:         36
        .size:           4
        .value_kind:     by_value
      - .address_space:  global
        .offset:         40
        .size:           8
        .value_kind:     global_buffer
      - .offset:         48
        .size:           4
        .value_kind:     by_value
      - .offset:         52
        .size:           4
        .value_kind:     by_value
      - .offset:         56
        .size:           4
        .value_kind:     by_value
      - .offset:         64
        .size:           8
        .value_kind:     by_value
    .group_segment_fixed_size: 0
    .kernarg_segment_align: 8
    .kernarg_segment_size: 72
    .language:       OpenCL C
    .language_version:
      - 2
      - 0
    .max_flat_workgroup_size: 1024
    .name:           _ZL12ssm_conv_f32ILb1ELm128ELm3EEvPKfS1_S1_iiiiPfiiil
    .private_segment_fixed_size: 0
    .sgpr_count:     68
    .sgpr_spill_count: 0
    .symbol:         _ZL12ssm_conv_f32ILb1ELm128ELm3EEvPKfS1_S1_iiiiPfiiil.kd
    .uniform_work_group_size: 1
    .uses_dynamic_stack: false
    .vgpr_count:     18
    .vgpr_spill_count: 0
    .wavefront_size: 32
  - .args:
      - .actual_access:  read_only
        .address_space:  global
        .offset:         0
        .size:           8
        .value_kind:     global_buffer
      - .actual_access:  read_only
        .address_space:  global
        .offset:         8
        .size:           8
        .value_kind:     global_buffer
      - .actual_access:  read_only
        .address_space:  global
        .offset:         16
        .size:           8
        .value_kind:     global_buffer
      - .offset:         24
        .size:           4
        .value_kind:     by_value
      - .offset:         28
        .size:           4
        .value_kind:     by_value
      - .offset:         32
        .size:           4
        .value_kind:     by_value
      - .offset:         36
        .size:           4
        .value_kind:     by_value
      - .actual_access:  write_only
        .address_space:  global
        .offset:         40
        .size:           8
        .value_kind:     global_buffer
      - .offset:         48
        .size:           4
        .value_kind:     by_value
      - .offset:         52
        .size:           4
        .value_kind:     by_value
      - .offset:         56
        .size:           4
        .value_kind:     by_value
      - .offset:         64
        .size:           8
        .value_kind:     by_value
    .group_segment_fixed_size: 0
    .kernarg_segment_align: 8
    .kernarg_segment_size: 72
    .language:       OpenCL C
    .language_version:
      - 2
      - 0
    .max_flat_workgroup_size: 1024
    .name:           _ZL23ssm_conv_long_token_f32ILb1ELm128ELm3ELl32EEvPKfS1_S1_iiiiPfiiil
    .private_segment_fixed_size: 0
    .sgpr_count:     22
    .sgpr_spill_count: 0
    .symbol:         _ZL23ssm_conv_long_token_f32ILb1ELm128ELm3ELl32EEvPKfS1_S1_iiiiPfiiil.kd
    .uniform_work_group_size: 1
    .uses_dynamic_stack: false
    .vgpr_count:     64
    .vgpr_spill_count: 0
    .wavefront_size: 32
  - .args:
      - .address_space:  global
        .offset:         0
        .size:           8
        .value_kind:     global_buffer
      - .address_space:  global
        .offset:         8
        .size:           8
        .value_kind:     global_buffer
      - .address_space:  global
        .offset:         16
        .size:           8
        .value_kind:     global_buffer
      - .offset:         24
        .size:           4
        .value_kind:     by_value
      - .offset:         28
        .size:           4
        .value_kind:     by_value
      - .offset:         32
        .size:           4
        .value_kind:     by_value
      - .offset:         36
        .size:           4
        .value_kind:     by_value
      - .address_space:  global
        .offset:         40
        .size:           8
        .value_kind:     global_buffer
      - .offset:         48
        .size:           4
        .value_kind:     by_value
      - .offset:         52
        .size:           4
        .value_kind:     by_value
      - .offset:         56
        .size:           4
        .value_kind:     by_value
      - .offset:         64
        .size:           8
        .value_kind:     by_value
    .group_segment_fixed_size: 0
    .kernarg_segment_align: 8
    .kernarg_segment_size: 72
    .language:       OpenCL C
    .language_version:
      - 2
      - 0
    .max_flat_workgroup_size: 1024
    .name:           _ZL12ssm_conv_f32ILb1ELm128ELm4EEvPKfS1_S1_iiiiPfiiil
    .private_segment_fixed_size: 0
    .sgpr_count:     20
    .sgpr_spill_count: 0
    .symbol:         _ZL12ssm_conv_f32ILb1ELm128ELm4EEvPKfS1_S1_iiiiPfiiil.kd
    .uniform_work_group_size: 1
    .uses_dynamic_stack: false
    .vgpr_count:     20
    .vgpr_spill_count: 0
    .wavefront_size: 32
  - .args:
      - .actual_access:  read_only
        .address_space:  global
        .offset:         0
        .size:           8
        .value_kind:     global_buffer
      - .actual_access:  read_only
        .address_space:  global
        .offset:         8
        .size:           8
        .value_kind:     global_buffer
      - .actual_access:  read_only
        .address_space:  global
        .offset:         16
        .size:           8
        .value_kind:     global_buffer
      - .offset:         24
        .size:           4
        .value_kind:     by_value
      - .offset:         28
        .size:           4
        .value_kind:     by_value
      - .offset:         32
        .size:           4
        .value_kind:     by_value
      - .offset:         36
        .size:           4
        .value_kind:     by_value
      - .actual_access:  write_only
        .address_space:  global
        .offset:         40
        .size:           8
        .value_kind:     global_buffer
      - .offset:         48
        .size:           4
        .value_kind:     by_value
      - .offset:         52
        .size:           4
        .value_kind:     by_value
      - .offset:         56
        .size:           4
        .value_kind:     by_value
      - .offset:         64
        .size:           8
        .value_kind:     by_value
    .group_segment_fixed_size: 0
    .kernarg_segment_align: 8
    .kernarg_segment_size: 72
    .language:       OpenCL C
    .language_version:
      - 2
      - 0
    .max_flat_workgroup_size: 1024
    .name:           _ZL23ssm_conv_long_token_f32ILb1ELm128ELm4ELl32EEvPKfS1_S1_iiiiPfiiil
    .private_segment_fixed_size: 0
    .sgpr_count:     22
    .sgpr_spill_count: 0
    .symbol:         _ZL23ssm_conv_long_token_f32ILb1ELm128ELm4ELl32EEvPKfS1_S1_iiiiPfiiil.kd
    .uniform_work_group_size: 1
    .uses_dynamic_stack: false
    .vgpr_count:     64
    .vgpr_spill_count: 0
    .wavefront_size: 32
  - .args:
      - .address_space:  global
        .offset:         0
        .size:           8
        .value_kind:     global_buffer
      - .address_space:  global
        .offset:         8
        .size:           8
        .value_kind:     global_buffer
      - .address_space:  global
        .offset:         16
        .size:           8
        .value_kind:     global_buffer
      - .offset:         24
        .size:           4
        .value_kind:     by_value
      - .offset:         28
        .size:           4
        .value_kind:     by_value
      - .offset:         32
        .size:           4
        .value_kind:     by_value
      - .offset:         36
        .size:           4
        .value_kind:     by_value
      - .address_space:  global
        .offset:         40
        .size:           8
        .value_kind:     global_buffer
      - .offset:         48
        .size:           4
        .value_kind:     by_value
      - .offset:         52
        .size:           4
        .value_kind:     by_value
      - .offset:         56
        .size:           4
        .value_kind:     by_value
      - .offset:         64
        .size:           8
        .value_kind:     by_value
    .group_segment_fixed_size: 0
    .kernarg_segment_align: 8
    .kernarg_segment_size: 72
    .language:       OpenCL C
    .language_version:
      - 2
      - 0
    .max_flat_workgroup_size: 1024
    .name:           _ZL12ssm_conv_f32ILb1ELm128ELm5EEvPKfS1_S1_iiiiPfiiil
    .private_segment_fixed_size: 0
    .sgpr_count:     92
    .sgpr_spill_count: 0
    .symbol:         _ZL12ssm_conv_f32ILb1ELm128ELm5EEvPKfS1_S1_iiiiPfiiil.kd
    .uniform_work_group_size: 1
    .uses_dynamic_stack: false
    .vgpr_count:     22
    .vgpr_spill_count: 0
    .wavefront_size: 32
  - .args:
      - .actual_access:  read_only
        .address_space:  global
        .offset:         0
        .size:           8
        .value_kind:     global_buffer
      - .actual_access:  read_only
        .address_space:  global
        .offset:         8
        .size:           8
        .value_kind:     global_buffer
      - .actual_access:  read_only
        .address_space:  global
        .offset:         16
        .size:           8
        .value_kind:     global_buffer
      - .offset:         24
        .size:           4
        .value_kind:     by_value
      - .offset:         28
        .size:           4
        .value_kind:     by_value
      - .offset:         32
        .size:           4
        .value_kind:     by_value
      - .offset:         36
        .size:           4
        .value_kind:     by_value
      - .actual_access:  write_only
        .address_space:  global
        .offset:         40
        .size:           8
        .value_kind:     global_buffer
      - .offset:         48
        .size:           4
        .value_kind:     by_value
      - .offset:         52
        .size:           4
        .value_kind:     by_value
      - .offset:         56
        .size:           4
        .value_kind:     by_value
      - .offset:         64
        .size:           8
        .value_kind:     by_value
    .group_segment_fixed_size: 0
    .kernarg_segment_align: 8
    .kernarg_segment_size: 72
    .language:       OpenCL C
    .language_version:
      - 2
      - 0
    .max_flat_workgroup_size: 1024
    .name:           _ZL23ssm_conv_long_token_f32ILb1ELm128ELm5ELl32EEvPKfS1_S1_iiiiPfiiil
    .private_segment_fixed_size: 0
    .sgpr_count:     22
    .sgpr_spill_count: 0
    .symbol:         _ZL23ssm_conv_long_token_f32ILb1ELm128ELm5ELl32EEvPKfS1_S1_iiiiPfiiil.kd
    .uniform_work_group_size: 1
    .uses_dynamic_stack: false
    .vgpr_count:     64
    .vgpr_spill_count: 0
    .wavefront_size: 32
  - .args:
      - .address_space:  global
        .offset:         0
        .size:           8
        .value_kind:     global_buffer
      - .address_space:  global
        .offset:         8
        .size:           8
        .value_kind:     global_buffer
      - .address_space:  global
        .offset:         16
        .size:           8
        .value_kind:     global_buffer
      - .offset:         24
        .size:           4
        .value_kind:     by_value
      - .offset:         28
        .size:           4
        .value_kind:     by_value
      - .offset:         32
        .size:           4
        .value_kind:     by_value
      - .offset:         36
        .size:           4
        .value_kind:     by_value
      - .address_space:  global
        .offset:         40
        .size:           8
        .value_kind:     global_buffer
      - .offset:         48
        .size:           4
        .value_kind:     by_value
      - .offset:         52
        .size:           4
        .value_kind:     by_value
      - .offset:         56
        .size:           4
        .value_kind:     by_value
      - .offset:         64
        .size:           8
        .value_kind:     by_value
    .group_segment_fixed_size: 0
    .kernarg_segment_align: 8
    .kernarg_segment_size: 72
    .language:       OpenCL C
    .language_version:
      - 2
      - 0
    .max_flat_workgroup_size: 1024
    .name:           _ZL12ssm_conv_f32ILb1ELm128ELm9EEvPKfS1_S1_iiiiPfiiil
    .private_segment_fixed_size: 0
    .sgpr_count:     106
    .sgpr_spill_count: 0
    .symbol:         _ZL12ssm_conv_f32ILb1ELm128ELm9EEvPKfS1_S1_iiiiPfiiil.kd
    .uniform_work_group_size: 1
    .uses_dynamic_stack: false
    .vgpr_count:     30
    .vgpr_spill_count: 0
    .wavefront_size: 32
  - .args:
      - .actual_access:  read_only
        .address_space:  global
        .offset:         0
        .size:           8
        .value_kind:     global_buffer
      - .actual_access:  read_only
        .address_space:  global
        .offset:         8
        .size:           8
        .value_kind:     global_buffer
      - .actual_access:  read_only
        .address_space:  global
        .offset:         16
        .size:           8
        .value_kind:     global_buffer
      - .offset:         24
        .size:           4
        .value_kind:     by_value
      - .offset:         28
        .size:           4
        .value_kind:     by_value
      - .offset:         32
        .size:           4
        .value_kind:     by_value
      - .offset:         36
        .size:           4
        .value_kind:     by_value
      - .actual_access:  write_only
        .address_space:  global
        .offset:         40
        .size:           8
        .value_kind:     global_buffer
      - .offset:         48
        .size:           4
        .value_kind:     by_value
      - .offset:         52
        .size:           4
        .value_kind:     by_value
      - .offset:         56
        .size:           4
        .value_kind:     by_value
      - .offset:         64
        .size:           8
        .value_kind:     by_value
    .group_segment_fixed_size: 0
    .kernarg_segment_align: 8
    .kernarg_segment_size: 72
    .language:       OpenCL C
    .language_version:
      - 2
      - 0
    .max_flat_workgroup_size: 1024
    .name:           _ZL23ssm_conv_long_token_f32ILb1ELm128ELm9ELl32EEvPKfS1_S1_iiiiPfiiil
    .private_segment_fixed_size: 0
    .sgpr_count:     22
    .sgpr_spill_count: 0
    .symbol:         _ZL23ssm_conv_long_token_f32ILb1ELm128ELm9ELl32EEvPKfS1_S1_iiiiPfiiil.kd
    .uniform_work_group_size: 1
    .uses_dynamic_stack: false
    .vgpr_count:     64
    .vgpr_spill_count: 0
    .wavefront_size: 32
  - .args:
      - .address_space:  global
        .offset:         0
        .size:           8
        .value_kind:     global_buffer
      - .address_space:  global
        .offset:         8
        .size:           8
        .value_kind:     global_buffer
      - .address_space:  global
        .offset:         16
        .size:           8
        .value_kind:     global_buffer
      - .offset:         24
        .size:           4
        .value_kind:     by_value
      - .offset:         28
        .size:           4
        .value_kind:     by_value
      - .offset:         32
        .size:           4
        .value_kind:     by_value
      - .offset:         36
        .size:           4
        .value_kind:     by_value
      - .address_space:  global
        .offset:         40
        .size:           8
        .value_kind:     global_buffer
      - .offset:         48
        .size:           4
        .value_kind:     by_value
      - .offset:         52
        .size:           4
        .value_kind:     by_value
      - .offset:         56
        .size:           4
        .value_kind:     by_value
      - .offset:         64
        .size:           8
        .value_kind:     by_value
    .group_segment_fixed_size: 0
    .kernarg_segment_align: 8
    .kernarg_segment_size: 72
    .language:       OpenCL C
    .language_version:
      - 2
      - 0
    .max_flat_workgroup_size: 1024
    .name:           _ZL12ssm_conv_f32ILb1ELm128ELm15EEvPKfS1_S1_iiiiPfiiil
    .private_segment_fixed_size: 0
    .sgpr_count:     107
    .sgpr_spill_count: 0
    .symbol:         _ZL12ssm_conv_f32ILb1ELm128ELm15EEvPKfS1_S1_iiiiPfiiil.kd
    .uniform_work_group_size: 1
    .uses_dynamic_stack: false
    .vgpr_count:     44
    .vgpr_spill_count: 0
    .wavefront_size: 32
  - .args:
      - .actual_access:  read_only
        .address_space:  global
        .offset:         0
        .size:           8
        .value_kind:     global_buffer
      - .actual_access:  read_only
        .address_space:  global
        .offset:         8
        .size:           8
        .value_kind:     global_buffer
      - .actual_access:  read_only
        .address_space:  global
        .offset:         16
        .size:           8
        .value_kind:     global_buffer
      - .offset:         24
        .size:           4
        .value_kind:     by_value
      - .offset:         28
        .size:           4
        .value_kind:     by_value
      - .offset:         32
        .size:           4
        .value_kind:     by_value
      - .offset:         36
        .size:           4
        .value_kind:     by_value
      - .actual_access:  write_only
        .address_space:  global
        .offset:         40
        .size:           8
        .value_kind:     global_buffer
      - .offset:         48
        .size:           4
        .value_kind:     by_value
      - .offset:         52
        .size:           4
        .value_kind:     by_value
      - .offset:         56
        .size:           4
        .value_kind:     by_value
      - .offset:         64
        .size:           8
        .value_kind:     by_value
    .group_segment_fixed_size: 0
    .kernarg_segment_align: 8
    .kernarg_segment_size: 72
    .language:       OpenCL C
    .language_version:
      - 2
      - 0
    .max_flat_workgroup_size: 1024
    .name:           _ZL23ssm_conv_long_token_f32ILb1ELm128ELm15ELl32EEvPKfS1_S1_iiiiPfiiil
    .private_segment_fixed_size: 0
    .sgpr_count:     22
    .sgpr_spill_count: 0
    .symbol:         _ZL23ssm_conv_long_token_f32ILb1ELm128ELm15ELl32EEvPKfS1_S1_iiiiPfiiil.kd
    .uniform_work_group_size: 1
    .uses_dynamic_stack: false
    .vgpr_count:     63
    .vgpr_spill_count: 0
    .wavefront_size: 32
  - .args:
      - .address_space:  global
        .offset:         0
        .size:           8
        .value_kind:     global_buffer
      - .address_space:  global
        .offset:         8
        .size:           8
        .value_kind:     global_buffer
      - .address_space:  global
        .offset:         16
        .size:           8
        .value_kind:     global_buffer
      - .offset:         24
        .size:           4
        .value_kind:     by_value
      - .offset:         28
        .size:           4
        .value_kind:     by_value
      - .offset:         32
        .size:           4
        .value_kind:     by_value
      - .offset:         36
        .size:           4
        .value_kind:     by_value
      - .address_space:  global
        .offset:         40
        .size:           8
        .value_kind:     global_buffer
      - .offset:         48
        .size:           4
        .value_kind:     by_value
      - .offset:         52
        .size:           4
        .value_kind:     by_value
      - .offset:         56
        .size:           4
        .value_kind:     by_value
      - .offset:         64
        .size:           8
        .value_kind:     by_value
    .group_segment_fixed_size: 0
    .kernarg_segment_align: 8
    .kernarg_segment_size: 72
    .language:       OpenCL C
    .language_version:
      - 2
      - 0
    .max_flat_workgroup_size: 1024
    .name:           _ZL12ssm_conv_f32ILb0ELm128ELm3EEvPKfS1_S1_iiiiPfiiil
    .private_segment_fixed_size: 0
    .sgpr_count:     68
    .sgpr_spill_count: 0
    .symbol:         _ZL12ssm_conv_f32ILb0ELm128ELm3EEvPKfS1_S1_iiiiPfiiil.kd
    .uniform_work_group_size: 1
    .uses_dynamic_stack: false
    .vgpr_count:     14
    .vgpr_spill_count: 0
    .wavefront_size: 32
  - .args:
      - .actual_access:  read_only
        .address_space:  global
        .offset:         0
        .size:           8
        .value_kind:     global_buffer
      - .actual_access:  read_only
        .address_space:  global
        .offset:         8
        .size:           8
        .value_kind:     global_buffer
      - .actual_access:  read_only
        .address_space:  global
        .offset:         16
        .size:           8
        .value_kind:     global_buffer
      - .offset:         24
        .size:           4
        .value_kind:     by_value
      - .offset:         28
        .size:           4
        .value_kind:     by_value
      - .offset:         32
        .size:           4
        .value_kind:     by_value
      - .offset:         36
        .size:           4
        .value_kind:     by_value
      - .actual_access:  write_only
        .address_space:  global
        .offset:         40
        .size:           8
        .value_kind:     global_buffer
      - .offset:         48
        .size:           4
        .value_kind:     by_value
      - .offset:         52
        .size:           4
        .value_kind:     by_value
      - .offset:         56
        .size:           4
        .value_kind:     by_value
      - .offset:         64
        .size:           8
        .value_kind:     by_value
    .group_segment_fixed_size: 0
    .kernarg_segment_align: 8
    .kernarg_segment_size: 72
    .language:       OpenCL C
    .language_version:
      - 2
      - 0
    .max_flat_workgroup_size: 1024
    .name:           _ZL23ssm_conv_long_token_f32ILb0ELm128ELm3ELl32EEvPKfS1_S1_iiiiPfiiil
    .private_segment_fixed_size: 0
    .sgpr_count:     22
    .sgpr_spill_count: 0
    .symbol:         _ZL23ssm_conv_long_token_f32ILb0ELm128ELm3ELl32EEvPKfS1_S1_iiiiPfiiil.kd
    .uniform_work_group_size: 1
    .uses_dynamic_stack: false
    .vgpr_count:     64
    .vgpr_spill_count: 0
    .wavefront_size: 32
  - .args:
      - .address_space:  global
        .offset:         0
        .size:           8
        .value_kind:     global_buffer
      - .address_space:  global
        .offset:         8
        .size:           8
        .value_kind:     global_buffer
      - .address_space:  global
        .offset:         16
        .size:           8
        .value_kind:     global_buffer
      - .offset:         24
        .size:           4
        .value_kind:     by_value
      - .offset:         28
        .size:           4
        .value_kind:     by_value
      - .offset:         32
        .size:           4
        .value_kind:     by_value
      - .offset:         36
        .size:           4
        .value_kind:     by_value
      - .address_space:  global
        .offset:         40
        .size:           8
        .value_kind:     global_buffer
      - .offset:         48
        .size:           4
        .value_kind:     by_value
      - .offset:         52
        .size:           4
        .value_kind:     by_value
      - .offset:         56
        .size:           4
        .value_kind:     by_value
      - .offset:         64
        .size:           8
        .value_kind:     by_value
    .group_segment_fixed_size: 0
    .kernarg_segment_align: 8
    .kernarg_segment_size: 72
    .language:       OpenCL C
    .language_version:
      - 2
      - 0
    .max_flat_workgroup_size: 1024
    .name:           _ZL12ssm_conv_f32ILb0ELm128ELm4EEvPKfS1_S1_iiiiPfiiil
    .private_segment_fixed_size: 0
    .sgpr_count:     20
    .sgpr_spill_count: 0
    .symbol:         _ZL12ssm_conv_f32ILb0ELm128ELm4EEvPKfS1_S1_iiiiPfiiil.kd
    .uniform_work_group_size: 1
    .uses_dynamic_stack: false
    .vgpr_count:     18
    .vgpr_spill_count: 0
    .wavefront_size: 32
  - .args:
      - .actual_access:  read_only
        .address_space:  global
        .offset:         0
        .size:           8
        .value_kind:     global_buffer
      - .actual_access:  read_only
        .address_space:  global
        .offset:         8
        .size:           8
        .value_kind:     global_buffer
      - .actual_access:  read_only
        .address_space:  global
        .offset:         16
        .size:           8
        .value_kind:     global_buffer
      - .offset:         24
        .size:           4
        .value_kind:     by_value
      - .offset:         28
        .size:           4
        .value_kind:     by_value
      - .offset:         32
        .size:           4
        .value_kind:     by_value
      - .offset:         36
        .size:           4
        .value_kind:     by_value
      - .actual_access:  write_only
        .address_space:  global
        .offset:         40
        .size:           8
        .value_kind:     global_buffer
      - .offset:         48
        .size:           4
        .value_kind:     by_value
      - .offset:         52
        .size:           4
        .value_kind:     by_value
      - .offset:         56
        .size:           4
        .value_kind:     by_value
      - .offset:         64
        .size:           8
        .value_kind:     by_value
    .group_segment_fixed_size: 0
    .kernarg_segment_align: 8
    .kernarg_segment_size: 72
    .language:       OpenCL C
    .language_version:
      - 2
      - 0
    .max_flat_workgroup_size: 1024
    .name:           _ZL23ssm_conv_long_token_f32ILb0ELm128ELm4ELl32EEvPKfS1_S1_iiiiPfiiil
    .private_segment_fixed_size: 0
    .sgpr_count:     22
    .sgpr_spill_count: 0
    .symbol:         _ZL23ssm_conv_long_token_f32ILb0ELm128ELm4ELl32EEvPKfS1_S1_iiiiPfiiil.kd
    .uniform_work_group_size: 1
    .uses_dynamic_stack: false
    .vgpr_count:     64
    .vgpr_spill_count: 0
    .wavefront_size: 32
  - .args:
      - .address_space:  global
        .offset:         0
        .size:           8
        .value_kind:     global_buffer
      - .address_space:  global
        .offset:         8
        .size:           8
        .value_kind:     global_buffer
      - .address_space:  global
        .offset:         16
        .size:           8
        .value_kind:     global_buffer
      - .offset:         24
        .size:           4
        .value_kind:     by_value
      - .offset:         28
        .size:           4
        .value_kind:     by_value
      - .offset:         32
        .size:           4
        .value_kind:     by_value
      - .offset:         36
        .size:           4
        .value_kind:     by_value
      - .address_space:  global
        .offset:         40
        .size:           8
        .value_kind:     global_buffer
      - .offset:         48
        .size:           4
        .value_kind:     by_value
      - .offset:         52
        .size:           4
        .value_kind:     by_value
      - .offset:         56
        .size:           4
        .value_kind:     by_value
      - .offset:         64
        .size:           8
        .value_kind:     by_value
    .group_segment_fixed_size: 0
    .kernarg_segment_align: 8
    .kernarg_segment_size: 72
    .language:       OpenCL C
    .language_version:
      - 2
      - 0
    .max_flat_workgroup_size: 1024
    .name:           _ZL12ssm_conv_f32ILb0ELm128ELm5EEvPKfS1_S1_iiiiPfiiil
    .private_segment_fixed_size: 0
    .sgpr_count:     92
    .sgpr_spill_count: 0
    .symbol:         _ZL12ssm_conv_f32ILb0ELm128ELm5EEvPKfS1_S1_iiiiPfiiil.kd
    .uniform_work_group_size: 1
    .uses_dynamic_stack: false
    .vgpr_count:     21
    .vgpr_spill_count: 0
    .wavefront_size: 32
  - .args:
      - .actual_access:  read_only
        .address_space:  global
        .offset:         0
        .size:           8
        .value_kind:     global_buffer
      - .actual_access:  read_only
        .address_space:  global
        .offset:         8
        .size:           8
        .value_kind:     global_buffer
      - .actual_access:  read_only
        .address_space:  global
        .offset:         16
        .size:           8
        .value_kind:     global_buffer
      - .offset:         24
        .size:           4
        .value_kind:     by_value
      - .offset:         28
        .size:           4
        .value_kind:     by_value
      - .offset:         32
        .size:           4
        .value_kind:     by_value
      - .offset:         36
        .size:           4
        .value_kind:     by_value
      - .actual_access:  write_only
        .address_space:  global
        .offset:         40
        .size:           8
        .value_kind:     global_buffer
      - .offset:         48
        .size:           4
        .value_kind:     by_value
      - .offset:         52
        .size:           4
        .value_kind:     by_value
      - .offset:         56
        .size:           4
        .value_kind:     by_value
      - .offset:         64
        .size:           8
        .value_kind:     by_value
    .group_segment_fixed_size: 0
    .kernarg_segment_align: 8
    .kernarg_segment_size: 72
    .language:       OpenCL C
    .language_version:
      - 2
      - 0
    .max_flat_workgroup_size: 1024
    .name:           _ZL23ssm_conv_long_token_f32ILb0ELm128ELm5ELl32EEvPKfS1_S1_iiiiPfiiil
    .private_segment_fixed_size: 0
    .sgpr_count:     22
    .sgpr_spill_count: 0
    .symbol:         _ZL23ssm_conv_long_token_f32ILb0ELm128ELm5ELl32EEvPKfS1_S1_iiiiPfiiil.kd
    .uniform_work_group_size: 1
    .uses_dynamic_stack: false
    .vgpr_count:     64
    .vgpr_spill_count: 0
    .wavefront_size: 32
  - .args:
      - .address_space:  global
        .offset:         0
        .size:           8
        .value_kind:     global_buffer
      - .address_space:  global
        .offset:         8
        .size:           8
        .value_kind:     global_buffer
      - .address_space:  global
        .offset:         16
        .size:           8
        .value_kind:     global_buffer
      - .offset:         24
        .size:           4
        .value_kind:     by_value
      - .offset:         28
        .size:           4
        .value_kind:     by_value
      - .offset:         32
        .size:           4
        .value_kind:     by_value
      - .offset:         36
        .size:           4
        .value_kind:     by_value
      - .address_space:  global
        .offset:         40
        .size:           8
        .value_kind:     global_buffer
      - .offset:         48
        .size:           4
        .value_kind:     by_value
      - .offset:         52
        .size:           4
        .value_kind:     by_value
      - .offset:         56
        .size:           4
        .value_kind:     by_value
      - .offset:         64
        .size:           8
        .value_kind:     by_value
    .group_segment_fixed_size: 0
    .kernarg_segment_align: 8
    .kernarg_segment_size: 72
    .language:       OpenCL C
    .language_version:
      - 2
      - 0
    .max_flat_workgroup_size: 1024
    .name:           _ZL12ssm_conv_f32ILb0ELm128ELm9EEvPKfS1_S1_iiiiPfiiil
    .private_segment_fixed_size: 0
    .sgpr_count:     106
    .sgpr_spill_count: 0
    .symbol:         _ZL12ssm_conv_f32ILb0ELm128ELm9EEvPKfS1_S1_iiiiPfiiil.kd
    .uniform_work_group_size: 1
    .uses_dynamic_stack: false
    .vgpr_count:     30
    .vgpr_spill_count: 0
    .wavefront_size: 32
  - .args:
      - .actual_access:  read_only
        .address_space:  global
        .offset:         0
        .size:           8
        .value_kind:     global_buffer
      - .actual_access:  read_only
        .address_space:  global
        .offset:         8
        .size:           8
        .value_kind:     global_buffer
      - .actual_access:  read_only
        .address_space:  global
        .offset:         16
        .size:           8
        .value_kind:     global_buffer
      - .offset:         24
        .size:           4
        .value_kind:     by_value
      - .offset:         28
        .size:           4
        .value_kind:     by_value
      - .offset:         32
        .size:           4
        .value_kind:     by_value
      - .offset:         36
        .size:           4
        .value_kind:     by_value
      - .actual_access:  write_only
        .address_space:  global
        .offset:         40
        .size:           8
        .value_kind:     global_buffer
      - .offset:         48
        .size:           4
        .value_kind:     by_value
      - .offset:         52
        .size:           4
        .value_kind:     by_value
      - .offset:         56
        .size:           4
        .value_kind:     by_value
      - .offset:         64
        .size:           8
        .value_kind:     by_value
    .group_segment_fixed_size: 0
    .kernarg_segment_align: 8
    .kernarg_segment_size: 72
    .language:       OpenCL C
    .language_version:
      - 2
      - 0
    .max_flat_workgroup_size: 1024
    .name:           _ZL23ssm_conv_long_token_f32ILb0ELm128ELm9ELl32EEvPKfS1_S1_iiiiPfiiil
    .private_segment_fixed_size: 0
    .sgpr_count:     22
    .sgpr_spill_count: 0
    .symbol:         _ZL23ssm_conv_long_token_f32ILb0ELm128ELm9ELl32EEvPKfS1_S1_iiiiPfiiil.kd
    .uniform_work_group_size: 1
    .uses_dynamic_stack: false
    .vgpr_count:     64
    .vgpr_spill_count: 0
    .wavefront_size: 32
  - .args:
      - .address_space:  global
        .offset:         0
        .size:           8
        .value_kind:     global_buffer
      - .address_space:  global
        .offset:         8
        .size:           8
        .value_kind:     global_buffer
      - .address_space:  global
        .offset:         16
        .size:           8
        .value_kind:     global_buffer
      - .offset:         24
        .size:           4
        .value_kind:     by_value
      - .offset:         28
        .size:           4
        .value_kind:     by_value
      - .offset:         32
        .size:           4
        .value_kind:     by_value
      - .offset:         36
        .size:           4
        .value_kind:     by_value
      - .address_space:  global
        .offset:         40
        .size:           8
        .value_kind:     global_buffer
      - .offset:         48
        .size:           4
        .value_kind:     by_value
      - .offset:         52
        .size:           4
        .value_kind:     by_value
      - .offset:         56
        .size:           4
        .value_kind:     by_value
      - .offset:         64
        .size:           8
        .value_kind:     by_value
    .group_segment_fixed_size: 0
    .kernarg_segment_align: 8
    .kernarg_segment_size: 72
    .language:       OpenCL C
    .language_version:
      - 2
      - 0
    .max_flat_workgroup_size: 1024
    .name:           _ZL12ssm_conv_f32ILb0ELm128ELm15EEvPKfS1_S1_iiiiPfiiil
    .private_segment_fixed_size: 0
    .sgpr_count:     107
    .sgpr_spill_count: 0
    .symbol:         _ZL12ssm_conv_f32ILb0ELm128ELm15EEvPKfS1_S1_iiiiPfiiil.kd
    .uniform_work_group_size: 1
    .uses_dynamic_stack: false
    .vgpr_count:     44
    .vgpr_spill_count: 0
    .wavefront_size: 32
  - .args:
      - .actual_access:  read_only
        .address_space:  global
        .offset:         0
        .size:           8
        .value_kind:     global_buffer
      - .actual_access:  read_only
        .address_space:  global
        .offset:         8
        .size:           8
        .value_kind:     global_buffer
      - .actual_access:  read_only
        .address_space:  global
        .offset:         16
        .size:           8
        .value_kind:     global_buffer
      - .offset:         24
        .size:           4
        .value_kind:     by_value
      - .offset:         28
        .size:           4
        .value_kind:     by_value
      - .offset:         32
        .size:           4
        .value_kind:     by_value
      - .offset:         36
        .size:           4
        .value_kind:     by_value
      - .actual_access:  write_only
        .address_space:  global
        .offset:         40
        .size:           8
        .value_kind:     global_buffer
      - .offset:         48
        .size:           4
        .value_kind:     by_value
      - .offset:         52
        .size:           4
        .value_kind:     by_value
      - .offset:         56
        .size:           4
        .value_kind:     by_value
      - .offset:         64
        .size:           8
        .value_kind:     by_value
    .group_segment_fixed_size: 0
    .kernarg_segment_align: 8
    .kernarg_segment_size: 72
    .language:       OpenCL C
    .language_version:
      - 2
      - 0
    .max_flat_workgroup_size: 1024
    .name:           _ZL23ssm_conv_long_token_f32ILb0ELm128ELm15ELl32EEvPKfS1_S1_iiiiPfiiil
    .private_segment_fixed_size: 0
    .sgpr_count:     22
    .sgpr_spill_count: 0
    .symbol:         _ZL23ssm_conv_long_token_f32ILb0ELm128ELm15ELl32EEvPKfS1_S1_iiiiPfiiil.kd
    .uniform_work_group_size: 1
    .uses_dynamic_stack: false
    .vgpr_count:     63
    .vgpr_spill_count: 0
    .wavefront_size: 32
amdhsa.target:   amdgcn-amd-amdhsa--gfx1250
amdhsa.version:
  - 1
  - 2
...

	.end_amdgpu_metadata
